;; amdgpu-corpus repo=ROCm/rocFFT kind=compiled arch=gfx1030 opt=O3
	.text
	.amdgcn_target "amdgcn-amd-amdhsa--gfx1030"
	.amdhsa_code_object_version 6
	.protected	fft_rtc_back_len4000_factors_10_10_10_4_wgs_200_tpt_200_halfLds_half_op_CI_CI_unitstride_sbrr_dirReg ; -- Begin function fft_rtc_back_len4000_factors_10_10_10_4_wgs_200_tpt_200_halfLds_half_op_CI_CI_unitstride_sbrr_dirReg
	.globl	fft_rtc_back_len4000_factors_10_10_10_4_wgs_200_tpt_200_halfLds_half_op_CI_CI_unitstride_sbrr_dirReg
	.p2align	8
	.type	fft_rtc_back_len4000_factors_10_10_10_4_wgs_200_tpt_200_halfLds_half_op_CI_CI_unitstride_sbrr_dirReg,@function
fft_rtc_back_len4000_factors_10_10_10_4_wgs_200_tpt_200_halfLds_half_op_CI_CI_unitstride_sbrr_dirReg: ; @fft_rtc_back_len4000_factors_10_10_10_4_wgs_200_tpt_200_halfLds_half_op_CI_CI_unitstride_sbrr_dirReg
; %bb.0:
	s_clause 0x2
	s_load_dwordx4 s[12:15], s[4:5], 0x0
	s_load_dwordx4 s[8:11], s[4:5], 0x58
	;; [unrolled: 1-line block ×3, first 2 shown]
	v_mul_u32_u24_e32 v1, 0x148, v0
	v_mov_b32_e32 v3, 0
	v_add_nc_u32_sdwa v5, s6, v1 dst_sel:DWORD dst_unused:UNUSED_PAD src0_sel:DWORD src1_sel:WORD_1
	v_mov_b32_e32 v1, 0
	v_mov_b32_e32 v6, v3
	v_mov_b32_e32 v2, 0
	s_waitcnt lgkmcnt(0)
	v_cmp_lt_u64_e64 s0, s[14:15], 2
	s_and_b32 vcc_lo, exec_lo, s0
	s_cbranch_vccnz .LBB0_8
; %bb.1:
	s_load_dwordx2 s[0:1], s[4:5], 0x10
	v_mov_b32_e32 v1, 0
	v_mov_b32_e32 v2, 0
	s_add_u32 s2, s18, 8
	s_addc_u32 s3, s19, 0
	s_add_u32 s6, s16, 8
	s_addc_u32 s7, s17, 0
	v_mov_b32_e32 v16, v2
	v_mov_b32_e32 v15, v1
	s_mov_b64 s[22:23], 1
	s_waitcnt lgkmcnt(0)
	s_add_u32 s20, s0, 8
	s_addc_u32 s21, s1, 0
.LBB0_2:                                ; =>This Inner Loop Header: Depth=1
	s_load_dwordx2 s[24:25], s[20:21], 0x0
                                        ; implicit-def: $vgpr17_vgpr18
	s_mov_b32 s0, exec_lo
	s_waitcnt lgkmcnt(0)
	v_or_b32_e32 v4, s25, v6
	v_cmpx_ne_u64_e32 0, v[3:4]
	s_xor_b32 s1, exec_lo, s0
	s_cbranch_execz .LBB0_4
; %bb.3:                                ;   in Loop: Header=BB0_2 Depth=1
	v_cvt_f32_u32_e32 v4, s24
	v_cvt_f32_u32_e32 v7, s25
	s_sub_u32 s0, 0, s24
	s_subb_u32 s26, 0, s25
	v_fmac_f32_e32 v4, 0x4f800000, v7
	v_rcp_f32_e32 v4, v4
	v_mul_f32_e32 v4, 0x5f7ffffc, v4
	v_mul_f32_e32 v7, 0x2f800000, v4
	v_trunc_f32_e32 v7, v7
	v_fmac_f32_e32 v4, 0xcf800000, v7
	v_cvt_u32_f32_e32 v7, v7
	v_cvt_u32_f32_e32 v4, v4
	v_mul_lo_u32 v8, s0, v7
	v_mul_hi_u32 v9, s0, v4
	v_mul_lo_u32 v10, s26, v4
	v_add_nc_u32_e32 v8, v9, v8
	v_mul_lo_u32 v9, s0, v4
	v_add_nc_u32_e32 v8, v8, v10
	v_mul_hi_u32 v10, v4, v9
	v_mul_lo_u32 v11, v4, v8
	v_mul_hi_u32 v12, v4, v8
	v_mul_hi_u32 v13, v7, v9
	v_mul_lo_u32 v9, v7, v9
	v_mul_hi_u32 v14, v7, v8
	v_mul_lo_u32 v8, v7, v8
	v_add_co_u32 v10, vcc_lo, v10, v11
	v_add_co_ci_u32_e32 v11, vcc_lo, 0, v12, vcc_lo
	v_add_co_u32 v9, vcc_lo, v10, v9
	v_add_co_ci_u32_e32 v9, vcc_lo, v11, v13, vcc_lo
	v_add_co_ci_u32_e32 v10, vcc_lo, 0, v14, vcc_lo
	v_add_co_u32 v8, vcc_lo, v9, v8
	v_add_co_ci_u32_e32 v9, vcc_lo, 0, v10, vcc_lo
	v_add_co_u32 v4, vcc_lo, v4, v8
	v_add_co_ci_u32_e32 v7, vcc_lo, v7, v9, vcc_lo
	v_mul_hi_u32 v8, s0, v4
	v_mul_lo_u32 v10, s26, v4
	v_mul_lo_u32 v9, s0, v7
	v_add_nc_u32_e32 v8, v8, v9
	v_mul_lo_u32 v9, s0, v4
	v_add_nc_u32_e32 v8, v8, v10
	v_mul_hi_u32 v10, v4, v9
	v_mul_lo_u32 v11, v4, v8
	v_mul_hi_u32 v12, v4, v8
	v_mul_hi_u32 v13, v7, v9
	v_mul_lo_u32 v9, v7, v9
	v_mul_hi_u32 v14, v7, v8
	v_mul_lo_u32 v8, v7, v8
	v_add_co_u32 v10, vcc_lo, v10, v11
	v_add_co_ci_u32_e32 v11, vcc_lo, 0, v12, vcc_lo
	v_add_co_u32 v9, vcc_lo, v10, v9
	v_add_co_ci_u32_e32 v9, vcc_lo, v11, v13, vcc_lo
	v_add_co_ci_u32_e32 v10, vcc_lo, 0, v14, vcc_lo
	v_add_co_u32 v8, vcc_lo, v9, v8
	v_add_co_ci_u32_e32 v9, vcc_lo, 0, v10, vcc_lo
	v_add_co_u32 v4, vcc_lo, v4, v8
	v_add_co_ci_u32_e32 v11, vcc_lo, v7, v9, vcc_lo
	v_mul_hi_u32 v13, v5, v4
	v_mad_u64_u32 v[9:10], null, v6, v4, 0
	v_mad_u64_u32 v[7:8], null, v5, v11, 0
	;; [unrolled: 1-line block ×3, first 2 shown]
	v_add_co_u32 v4, vcc_lo, v13, v7
	v_add_co_ci_u32_e32 v7, vcc_lo, 0, v8, vcc_lo
	v_add_co_u32 v4, vcc_lo, v4, v9
	v_add_co_ci_u32_e32 v4, vcc_lo, v7, v10, vcc_lo
	v_add_co_ci_u32_e32 v7, vcc_lo, 0, v12, vcc_lo
	v_add_co_u32 v4, vcc_lo, v4, v11
	v_add_co_ci_u32_e32 v9, vcc_lo, 0, v7, vcc_lo
	v_mul_lo_u32 v10, s25, v4
	v_mad_u64_u32 v[7:8], null, s24, v4, 0
	v_mul_lo_u32 v11, s24, v9
	v_sub_co_u32 v7, vcc_lo, v5, v7
	v_add3_u32 v8, v8, v11, v10
	v_sub_nc_u32_e32 v10, v6, v8
	v_subrev_co_ci_u32_e64 v10, s0, s25, v10, vcc_lo
	v_add_co_u32 v11, s0, v4, 2
	v_add_co_ci_u32_e64 v12, s0, 0, v9, s0
	v_sub_co_u32 v13, s0, v7, s24
	v_sub_co_ci_u32_e32 v8, vcc_lo, v6, v8, vcc_lo
	v_subrev_co_ci_u32_e64 v10, s0, 0, v10, s0
	v_cmp_le_u32_e32 vcc_lo, s24, v13
	v_cmp_eq_u32_e64 s0, s25, v8
	v_cndmask_b32_e64 v13, 0, -1, vcc_lo
	v_cmp_le_u32_e32 vcc_lo, s25, v10
	v_cndmask_b32_e64 v14, 0, -1, vcc_lo
	v_cmp_le_u32_e32 vcc_lo, s24, v7
	;; [unrolled: 2-line block ×3, first 2 shown]
	v_cndmask_b32_e64 v17, 0, -1, vcc_lo
	v_cmp_eq_u32_e32 vcc_lo, s25, v10
	v_cndmask_b32_e64 v7, v17, v7, s0
	v_cndmask_b32_e32 v10, v14, v13, vcc_lo
	v_add_co_u32 v13, vcc_lo, v4, 1
	v_add_co_ci_u32_e32 v14, vcc_lo, 0, v9, vcc_lo
	v_cmp_ne_u32_e32 vcc_lo, 0, v10
	v_cndmask_b32_e32 v8, v14, v12, vcc_lo
	v_cndmask_b32_e32 v10, v13, v11, vcc_lo
	v_cmp_ne_u32_e32 vcc_lo, 0, v7
	v_cndmask_b32_e32 v18, v9, v8, vcc_lo
	v_cndmask_b32_e32 v17, v4, v10, vcc_lo
.LBB0_4:                                ;   in Loop: Header=BB0_2 Depth=1
	s_andn2_saveexec_b32 s0, s1
	s_cbranch_execz .LBB0_6
; %bb.5:                                ;   in Loop: Header=BB0_2 Depth=1
	v_cvt_f32_u32_e32 v4, s24
	s_sub_i32 s1, 0, s24
	v_mov_b32_e32 v18, v3
	v_rcp_iflag_f32_e32 v4, v4
	v_mul_f32_e32 v4, 0x4f7ffffe, v4
	v_cvt_u32_f32_e32 v4, v4
	v_mul_lo_u32 v7, s1, v4
	v_mul_hi_u32 v7, v4, v7
	v_add_nc_u32_e32 v4, v4, v7
	v_mul_hi_u32 v4, v5, v4
	v_mul_lo_u32 v7, v4, s24
	v_add_nc_u32_e32 v8, 1, v4
	v_sub_nc_u32_e32 v7, v5, v7
	v_subrev_nc_u32_e32 v9, s24, v7
	v_cmp_le_u32_e32 vcc_lo, s24, v7
	v_cndmask_b32_e32 v7, v7, v9, vcc_lo
	v_cndmask_b32_e32 v4, v4, v8, vcc_lo
	v_cmp_le_u32_e32 vcc_lo, s24, v7
	v_add_nc_u32_e32 v8, 1, v4
	v_cndmask_b32_e32 v17, v4, v8, vcc_lo
.LBB0_6:                                ;   in Loop: Header=BB0_2 Depth=1
	s_or_b32 exec_lo, exec_lo, s0
	v_mul_lo_u32 v4, v18, s24
	v_mul_lo_u32 v9, v17, s25
	s_load_dwordx2 s[0:1], s[6:7], 0x0
	v_mad_u64_u32 v[7:8], null, v17, s24, 0
	s_load_dwordx2 s[24:25], s[2:3], 0x0
	s_add_u32 s22, s22, 1
	s_addc_u32 s23, s23, 0
	s_add_u32 s2, s2, 8
	s_addc_u32 s3, s3, 0
	s_add_u32 s6, s6, 8
	v_add3_u32 v4, v8, v9, v4
	v_sub_co_u32 v5, vcc_lo, v5, v7
	s_addc_u32 s7, s7, 0
	s_add_u32 s20, s20, 8
	v_sub_co_ci_u32_e32 v4, vcc_lo, v6, v4, vcc_lo
	s_addc_u32 s21, s21, 0
	s_waitcnt lgkmcnt(0)
	v_mul_lo_u32 v6, s0, v4
	v_mul_lo_u32 v7, s1, v5
	v_mad_u64_u32 v[1:2], null, s0, v5, v[1:2]
	v_mul_lo_u32 v4, s24, v4
	v_mul_lo_u32 v8, s25, v5
	v_mad_u64_u32 v[15:16], null, s24, v5, v[15:16]
	v_cmp_ge_u64_e64 s0, s[22:23], s[14:15]
	v_add3_u32 v2, v7, v2, v6
	v_add3_u32 v16, v8, v16, v4
	s_and_b32 vcc_lo, exec_lo, s0
	s_cbranch_vccnz .LBB0_9
; %bb.7:                                ;   in Loop: Header=BB0_2 Depth=1
	v_mov_b32_e32 v5, v17
	v_mov_b32_e32 v6, v18
	s_branch .LBB0_2
.LBB0_8:
	v_mov_b32_e32 v16, v2
	v_mov_b32_e32 v18, v6
	;; [unrolled: 1-line block ×4, first 2 shown]
.LBB0_9:
	s_load_dwordx2 s[0:1], s[4:5], 0x28
	v_mul_hi_u32 v48, 0x147ae15, v0
	s_lshl_b64 s[4:5], s[14:15], 3
                                        ; implicit-def: $vgpr21
	s_add_u32 s2, s18, s4
	s_addc_u32 s3, s19, s5
	s_waitcnt lgkmcnt(0)
	v_cmp_gt_u64_e32 vcc_lo, s[0:1], v[17:18]
	v_cmp_le_u64_e64 s0, s[0:1], v[17:18]
	s_and_saveexec_b32 s1, s0
	s_xor_b32 s0, exec_lo, s1
; %bb.10:
	v_mul_u32_u24_e32 v1, 0xc8, v48
                                        ; implicit-def: $vgpr48
	v_sub_nc_u32_e32 v21, v0, v1
                                        ; implicit-def: $vgpr0
                                        ; implicit-def: $vgpr1_vgpr2
; %bb.11:
	s_or_saveexec_b32 s1, s0
                                        ; implicit-def: $vgpr29
                                        ; implicit-def: $vgpr19
                                        ; implicit-def: $vgpr31
                                        ; implicit-def: $vgpr20
                                        ; implicit-def: $vgpr44
                                        ; implicit-def: $vgpr42
                                        ; implicit-def: $vgpr39
                                        ; implicit-def: $vgpr32
                                        ; implicit-def: $vgpr45
                                        ; implicit-def: $vgpr40
                                        ; implicit-def: $vgpr37
                                        ; implicit-def: $vgpr33
                                        ; implicit-def: $vgpr46
                                        ; implicit-def: $vgpr41
                                        ; implicit-def: $vgpr38
                                        ; implicit-def: $vgpr34
                                        ; implicit-def: $vgpr47
                                        ; implicit-def: $vgpr43
                                        ; implicit-def: $vgpr36
                                        ; implicit-def: $vgpr35
                                        ; implicit-def: $vgpr5
                                        ; implicit-def: $vgpr3
                                        ; implicit-def: $vgpr6
                                        ; implicit-def: $vgpr4
                                        ; implicit-def: $vgpr25
                                        ; implicit-def: $vgpr22
                                        ; implicit-def: $vgpr13
                                        ; implicit-def: $vgpr7
                                        ; implicit-def: $vgpr26
                                        ; implicit-def: $vgpr23
                                        ; implicit-def: $vgpr10
                                        ; implicit-def: $vgpr9
                                        ; implicit-def: $vgpr27
                                        ; implicit-def: $vgpr24
                                        ; implicit-def: $vgpr11
                                        ; implicit-def: $vgpr12
                                        ; implicit-def: $vgpr28
                                        ; implicit-def: $vgpr30
                                        ; implicit-def: $vgpr8
                                        ; implicit-def: $vgpr14
	s_xor_b32 exec_lo, exec_lo, s1
	s_cbranch_execz .LBB0_13
; %bb.12:
	s_add_u32 s4, s16, s4
	s_addc_u32 s5, s17, s5
	v_lshlrev_b64 v[1:2], 2, v[1:2]
	s_load_dwordx2 s[4:5], s[4:5], 0x0
	s_waitcnt lgkmcnt(0)
	v_mul_lo_u32 v5, s5, v17
	v_mul_lo_u32 v6, s4, v18
	v_mad_u64_u32 v[3:4], null, s4, v17, 0
	v_add3_u32 v4, v4, v6, v5
	v_mul_u32_u24_e32 v5, 0xc8, v48
	v_lshlrev_b64 v[3:4], 2, v[3:4]
	v_sub_nc_u32_e32 v21, v0, v5
	v_add_co_u32 v0, s0, s8, v3
	v_add_co_ci_u32_e64 v3, s0, s9, v4, s0
	v_lshlrev_b32_e32 v4, 2, v21
	v_add_co_u32 v0, s0, v0, v1
	v_add_co_ci_u32_e64 v1, s0, v3, v2, s0
	v_add_co_u32 v0, s0, v0, v4
	v_add_co_ci_u32_e64 v1, s0, 0, v1, s0
	s_clause 0x1
	global_load_dword v19, v[0:1], off
	global_load_dword v20, v[0:1], off offset:1600
	v_add_co_u32 v2, s0, 0x800, v0
	v_add_co_ci_u32_e64 v3, s0, 0, v1, s0
	v_add_co_u32 v4, s0, 0x1000, v0
	v_add_co_ci_u32_e64 v5, s0, 0, v1, s0
	;; [unrolled: 2-line block ×7, first 2 shown]
	s_clause 0x11
	global_load_dword v42, v[2:3], off offset:1152
	global_load_dword v40, v[10:11], off offset:256
	;; [unrolled: 1-line block ×18, first 2 shown]
	s_waitcnt vmcnt(19)
	v_lshrrev_b32_e32 v29, 16, v19
	s_waitcnt vmcnt(18)
	v_lshrrev_b32_e32 v31, 16, v20
	;; [unrolled: 2-line block ×20, first 2 shown]
.LBB0_13:
	s_or_b32 exec_lo, exec_lo, s1
	v_add_f16_e32 v0, v40, v41
	v_sub_f16_e32 v2, v44, v47
	v_add_f16_e32 v51, v42, v43
	v_add_f16_e32 v1, v19, v42
	v_sub_f16_e32 v48, v45, v46
	v_fma_f16 v0, -0.5, v0, v19
	v_add_f16_e32 v54, v29, v44
	v_fmac_f16_e32 v19, -0.5, v51
	v_sub_f16_e32 v49, v42, v40
	v_sub_f16_e32 v50, v43, v41
	v_fmamk_f16 v52, v2, 0xbb9c, v0
	v_fmac_f16_e32 v0, 0x3b9c, v2
	v_fmamk_f16 v51, v48, 0x3b9c, v19
	v_fmac_f16_e32 v19, 0xbb9c, v48
	v_add_f16_e32 v1, v1, v40
	v_fmac_f16_e32 v52, 0xb8b4, v48
	v_fmac_f16_e32 v0, 0x38b4, v48
	v_add_f16_e32 v48, v54, v45
	v_sub_f16_e32 v53, v40, v42
	v_add_f16_e32 v49, v49, v50
	v_sub_f16_e32 v50, v41, v43
	v_add_f16_e32 v55, v45, v46
	v_fmac_f16_e32 v51, 0xb8b4, v2
	v_fmac_f16_e32 v19, 0x38b4, v2
	v_add_f16_e32 v2, v48, v46
	v_add_f16_e32 v48, v44, v47
	;; [unrolled: 1-line block ×4, first 2 shown]
	v_fma_f16 v53, -0.5, v55, v29
	v_sub_f16_e32 v42, v42, v43
	v_sub_f16_e32 v40, v40, v41
	v_fmac_f16_e32 v29, -0.5, v48
	v_add_f16_e32 v1, v1, v43
	v_fmac_f16_e32 v52, 0x34f2, v49
	v_fmac_f16_e32 v0, 0x34f2, v49
	v_fmamk_f16 v43, v42, 0x3b9c, v53
	v_sub_f16_e32 v41, v44, v45
	v_sub_f16_e32 v49, v47, v46
	v_fmac_f16_e32 v53, 0xbb9c, v42
	v_fmamk_f16 v48, v40, 0xbb9c, v29
	v_sub_f16_e32 v44, v45, v44
	v_sub_f16_e32 v45, v46, v47
	v_fmac_f16_e32 v29, 0x3b9c, v40
	v_fmac_f16_e32 v43, 0x38b4, v40
	v_add_f16_e32 v41, v41, v49
	v_fmac_f16_e32 v53, 0xb8b4, v40
	v_fmac_f16_e32 v48, 0x38b4, v42
	v_add_f16_e32 v44, v44, v45
	v_add_f16_e32 v45, v33, v34
	v_fmac_f16_e32 v29, 0xb8b4, v42
	v_add_f16_e32 v42, v32, v35
	v_fmac_f16_e32 v43, 0x34f2, v41
	v_add_f16_e32 v46, v20, v32
	v_fmac_f16_e32 v53, 0x34f2, v41
	v_fmac_f16_e32 v48, 0x34f2, v44
	v_fma_f16 v41, -0.5, v45, v20
	v_sub_f16_e32 v45, v39, v36
	v_fmac_f16_e32 v29, 0x34f2, v44
	v_sub_f16_e32 v44, v37, v38
	v_fmac_f16_e32 v20, -0.5, v42
	v_add_f16_e32 v40, v46, v33
	v_fmamk_f16 v42, v45, 0xbb9c, v41
	v_fmac_f16_e32 v41, 0x3b9c, v45
	v_fmac_f16_e32 v51, 0x34f2, v50
	v_fmamk_f16 v49, v44, 0x3b9c, v20
	v_fmac_f16_e32 v20, 0xbb9c, v44
	v_fmac_f16_e32 v19, 0x34f2, v50
	v_add_f16_e32 v2, v2, v47
	v_add_f16_e32 v40, v40, v34
	v_sub_f16_e32 v46, v32, v33
	v_sub_f16_e32 v47, v35, v34
	;; [unrolled: 1-line block ×4, first 2 shown]
	v_fmac_f16_e32 v42, 0xb8b4, v44
	v_fmac_f16_e32 v41, 0x38b4, v44
	;; [unrolled: 1-line block ×3, first 2 shown]
	v_add_f16_e32 v44, v37, v38
	v_fmac_f16_e32 v20, 0x38b4, v45
	v_add_f16_e32 v45, v39, v36
	v_add_f16_e32 v40, v40, v35
	;; [unrolled: 1-line block ×4, first 2 shown]
	v_fma_f16 v44, -0.5, v44, v31
	v_sub_f16_e32 v32, v32, v35
	v_add_f16_e32 v35, v31, v39
	v_sub_f16_e32 v33, v33, v34
	v_fmac_f16_e32 v31, -0.5, v45
	v_fmac_f16_e32 v42, 0x34f2, v46
	v_fmac_f16_e32 v41, 0x34f2, v46
	v_fmac_f16_e32 v49, 0x34f2, v47
	v_fmac_f16_e32 v20, 0x34f2, v47
	v_fmamk_f16 v34, v32, 0x3b9c, v44
	v_sub_f16_e32 v45, v39, v37
	v_sub_f16_e32 v46, v36, v38
	v_fmamk_f16 v47, v33, 0xbb9c, v31
	v_sub_f16_e32 v39, v37, v39
	v_sub_f16_e32 v50, v38, v36
	v_fmac_f16_e32 v31, 0x3b9c, v33
	v_fmac_f16_e32 v34, 0x38b4, v33
	v_add_f16_e32 v45, v45, v46
	v_fmac_f16_e32 v47, 0x38b4, v32
	v_add_f16_e32 v39, v39, v50
	v_fmac_f16_e32 v44, 0xbb9c, v32
	v_fmac_f16_e32 v31, 0xb8b4, v32
	v_add_f16_e32 v32, v35, v37
	v_fmac_f16_e32 v34, 0x34f2, v45
	v_fmac_f16_e32 v47, 0x34f2, v39
	v_fmac_f16_e32 v44, 0xb8b4, v33
	v_fmac_f16_e32 v31, 0x34f2, v39
	v_add_f16_e32 v32, v32, v38
	v_mul_f16_e32 v33, 0xb8b4, v34
	v_mul_f16_e32 v35, 0xbb9c, v47
	v_fmac_f16_e32 v44, 0x34f2, v45
	v_mul_f16_e32 v37, 0xbb9c, v31
	v_add_f16_e32 v32, v32, v36
	v_fmac_f16_e32 v33, 0x3a79, v42
	v_fmac_f16_e32 v35, 0x34f2, v49
	v_mul_f16_e32 v36, 0xb8b4, v44
	v_mul_f16_e32 v34, 0x3a79, v34
	v_mul_f16_e32 v49, 0x3b9c, v49
	v_fmac_f16_e32 v37, 0xb4f2, v20
	v_add_f16_e32 v38, v1, v40
	v_add_f16_e32 v39, v52, v33
	v_fmac_f16_e32 v36, 0xba79, v41
	v_mul_f16_e32 v31, 0xb4f2, v31
	v_mul_f16_e32 v44, 0xba79, v44
	v_fmac_f16_e32 v34, 0x38b4, v42
	v_fmac_f16_e32 v49, 0x34f2, v47
	v_sub_f16_e32 v1, v1, v40
	v_sub_f16_e32 v33, v52, v33
	v_add_f16_e32 v40, v23, v24
	v_add_f16_e32 v52, v22, v30
	;; [unrolled: 1-line block ×5, first 2 shown]
	v_fmac_f16_e32 v31, 0x3b9c, v20
	v_fmac_f16_e32 v44, 0x38b4, v41
	v_add_f16_e32 v41, v43, v34
	v_add_f16_e32 v42, v48, v49
	v_sub_f16_e32 v35, v51, v35
	v_sub_f16_e32 v19, v19, v37
	v_sub_f16_e32 v0, v0, v36
	v_add_f16_e32 v36, v3, v22
	v_fma_f16 v37, -0.5, v40, v3
	v_sub_f16_e32 v40, v25, v28
	v_sub_f16_e32 v34, v43, v34
	;; [unrolled: 1-line block ×6, first 2 shown]
	v_fmac_f16_e32 v3, -0.5, v52
	v_add_f16_e32 v20, v2, v32
	v_add_f16_e32 v47, v29, v31
	;; [unrolled: 1-line block ×3, first 2 shown]
	v_sub_f16_e32 v32, v2, v32
	v_add_f16_e32 v2, v36, v23
	v_fmamk_f16 v36, v40, 0xbb9c, v37
	v_sub_f16_e32 v29, v29, v31
	v_add_f16_e32 v31, v49, v51
	v_sub_f16_e32 v44, v53, v44
	v_fmac_f16_e32 v37, 0x3b9c, v40
	v_fmamk_f16 v49, v48, 0x3b9c, v3
	v_sub_f16_e32 v51, v23, v22
	v_sub_f16_e32 v52, v24, v30
	v_add_f16_e32 v53, v5, v25
	v_add_f16_e32 v55, v26, v27
	v_fmac_f16_e32 v3, 0xbb9c, v48
	v_add_f16_e32 v2, v2, v24
	v_fmac_f16_e32 v36, 0xb8b4, v48
	v_fmac_f16_e32 v37, 0x38b4, v48
	;; [unrolled: 1-line block ×3, first 2 shown]
	v_add_f16_e32 v51, v51, v52
	v_add_f16_e32 v48, v53, v26
	v_fma_f16 v52, -0.5, v55, v5
	v_sub_f16_e32 v22, v22, v30
	v_fmac_f16_e32 v3, 0x38b4, v40
	v_add_f16_e32 v40, v25, v28
	v_add_f16_e32 v2, v2, v30
	v_fmac_f16_e32 v36, 0x34f2, v31
	v_fmac_f16_e32 v37, 0x34f2, v31
	v_add_f16_e32 v30, v48, v27
	v_fmamk_f16 v31, v22, 0x3b9c, v52
	v_sub_f16_e32 v23, v23, v24
	v_sub_f16_e32 v24, v25, v26
	;; [unrolled: 1-line block ×3, first 2 shown]
	v_fmac_f16_e32 v5, -0.5, v40
	v_fmac_f16_e32 v52, 0xbb9c, v22
	v_sub_f16_e32 v25, v26, v25
	v_sub_f16_e32 v26, v27, v28
	v_add_f16_e32 v27, v4, v7
	v_fmac_f16_e32 v31, 0x38b4, v23
	v_add_f16_e32 v24, v24, v48
	v_fmamk_f16 v40, v23, 0xbb9c, v5
	v_fmac_f16_e32 v52, 0xb8b4, v23
	v_add_f16_e32 v25, v25, v26
	v_fmac_f16_e32 v5, 0x3b9c, v23
	v_add_f16_e32 v23, v27, v9
	v_add_f16_e32 v26, v9, v12
	v_fmac_f16_e32 v31, 0x34f2, v24
	v_fmac_f16_e32 v40, 0x38b4, v22
	v_fmac_f16_e32 v52, 0x34f2, v24
	v_fmac_f16_e32 v5, 0xb8b4, v22
	v_add_f16_e32 v22, v23, v12
	v_fma_f16 v23, -0.5, v26, v4
	v_add_f16_e32 v24, v7, v14
	v_sub_f16_e32 v26, v13, v8
	v_fmac_f16_e32 v40, 0x34f2, v25
	v_fmac_f16_e32 v5, 0x34f2, v25
	v_sub_f16_e32 v25, v10, v11
	v_fmac_f16_e32 v4, -0.5, v24
	v_fmamk_f16 v24, v26, 0xbb9c, v23
	v_fmac_f16_e32 v23, 0x3b9c, v26
	v_add_f16_e32 v30, v30, v28
	v_sub_f16_e32 v27, v7, v9
	v_sub_f16_e32 v28, v14, v12
	v_fmamk_f16 v48, v25, 0x3b9c, v4
	v_fmac_f16_e32 v24, 0xb8b4, v25
	v_fmac_f16_e32 v23, 0x38b4, v25
	;; [unrolled: 1-line block ×3, first 2 shown]
	v_add_f16_e32 v25, v10, v11
	v_fmac_f16_e32 v49, 0x34f2, v51
	v_fmac_f16_e32 v3, 0x34f2, v51
	v_sub_f16_e32 v51, v9, v7
	v_sub_f16_e32 v53, v12, v14
	v_add_f16_e32 v27, v27, v28
	v_fmac_f16_e32 v48, 0xb8b4, v26
	v_fmac_f16_e32 v4, 0x38b4, v26
	v_add_f16_e32 v26, v13, v8
	v_fma_f16 v25, -0.5, v25, v6
	v_sub_f16_e32 v7, v7, v14
	v_add_f16_e32 v22, v22, v14
	v_add_f16_e32 v28, v51, v53
	v_fmac_f16_e32 v24, 0x34f2, v27
	v_fmac_f16_e32 v23, 0x34f2, v27
	v_add_f16_e32 v14, v6, v13
	v_sub_f16_e32 v9, v9, v12
	v_fmac_f16_e32 v6, -0.5, v26
	v_fmamk_f16 v12, v7, 0x3b9c, v25
	v_sub_f16_e32 v26, v13, v10
	v_sub_f16_e32 v27, v8, v11
	v_fmac_f16_e32 v48, 0x34f2, v28
	v_fmac_f16_e32 v4, 0x34f2, v28
	v_fmamk_f16 v28, v9, 0xbb9c, v6
	v_sub_f16_e32 v13, v10, v13
	v_sub_f16_e32 v51, v11, v8
	v_fmac_f16_e32 v6, 0x3b9c, v9
	v_fmac_f16_e32 v12, 0x38b4, v9
	v_add_f16_e32 v26, v26, v27
	v_fmac_f16_e32 v25, 0xbb9c, v7
	v_fmac_f16_e32 v28, 0x38b4, v7
	v_add_f16_e32 v13, v13, v51
	;; [unrolled: 3-line block ×3, first 2 shown]
	v_fmac_f16_e32 v25, 0xb8b4, v9
	v_fmac_f16_e32 v28, 0x34f2, v13
	;; [unrolled: 1-line block ×3, first 2 shown]
	v_mul_f16_e32 v9, 0xb8b4, v12
	v_add_f16_e32 v7, v7, v11
	v_fmac_f16_e32 v25, 0x34f2, v26
	v_mul_f16_e32 v10, 0xbb9c, v28
	v_mul_f16_e32 v11, 0xbb9c, v6
	v_fmac_f16_e32 v9, 0x3a79, v24
	v_mul_f16_e32 v6, 0xb4f2, v6
	v_add_f16_e32 v7, v7, v8
	v_mul_f16_e32 v8, 0xb8b4, v25
	v_fmac_f16_e32 v10, 0x34f2, v48
	v_fmac_f16_e32 v11, 0xb4f2, v4
	v_add_f16_e32 v14, v36, v9
	v_fmac_f16_e32 v6, 0x3b9c, v4
	v_sub_f16_e32 v4, v36, v9
	v_mul_u32_u24_e32 v9, 10, v21
	v_fmac_f16_e32 v8, 0xba79, v23
	v_add_f16_e32 v13, v2, v22
	v_add_f16_e32 v26, v49, v10
	;; [unrolled: 1-line block ×3, first 2 shown]
	v_sub_f16_e32 v2, v2, v22
	v_sub_f16_e32 v3, v3, v11
	v_lshl_add_u32 v9, v9, 1, 0
	v_pack_b32_f16 v11, v45, v46
	v_pack_b32_f16 v22, v38, v39
	v_add_f16_e32 v51, v37, v8
	v_sub_f16_e32 v10, v49, v10
	v_add_f16_e32 v53, v5, v6
	v_sub_f16_e32 v6, v5, v6
	v_pack_b32_f16 v5, v33, v35
	v_pack_b32_f16 v1, v50, v1
	;; [unrolled: 1-line block ×3, first 2 shown]
	ds_write2_b32 v9, v22, v11 offset1:1
	v_add_nc_u32_e32 v11, 0xfa0, v9
	v_pack_b32_f16 v19, v26, v27
	v_pack_b32_f16 v13, v13, v14
	v_add_nc_u32_e32 v14, 0xfa8, v9
	v_pack_b32_f16 v4, v4, v10
	v_pack_b32_f16 v2, v51, v2
	s_load_dwordx2 s[2:3], s[2:3], 0x0
	ds_write2_b32 v9, v1, v5 offset0:2 offset1:3
	ds_write_b32 v9, v0 offset:16
	ds_write2_b32 v11, v13, v19 offset1:1
	ds_write2_b32 v14, v2, v4 offset1:1
	v_and_b32_e32 v0, 0xff, v21
	v_sub_f16_e32 v8, v37, v8
	v_mul_f16_e32 v48, 0x3b9c, v48
	v_mul_f16_e32 v25, 0xba79, v25
	;; [unrolled: 1-line block ×3, first 2 shown]
	v_mul_lo_u16 v0, 0xcd, v0
	v_pack_b32_f16 v1, v3, v8
	v_fmac_f16_e32 v48, 0x34f2, v28
	v_fmac_f16_e32 v25, 0x38b4, v23
	v_mad_i32_i24 v22, 0xffffffee, v21, v9
	v_lshrrev_b16 v4, 11, v0
	ds_write_b32 v9, v1 offset:4016
	v_pack_b32_f16 v1, v42, v47
	v_pack_b32_f16 v0, v20, v41
	v_fmac_f16_e32 v12, 0x38b4, v24
	v_mul_lo_u16 v10, v4, 10
	v_pack_b32_f16 v5, v34, v43
	v_pack_b32_f16 v8, v54, v32
	v_add_f16_e32 v23, v30, v7
	v_add_f16_e32 v28, v40, v48
	;; [unrolled: 1-line block ×3, first 2 shown]
	v_sub_f16_e32 v7, v30, v7
	v_sub_f16_e32 v30, v40, v48
	;; [unrolled: 1-line block ×3, first 2 shown]
	s_waitcnt lgkmcnt(0)
	s_barrier
	buffer_gl0_inv
	ds_read_u16 v2, v22
	ds_read_u16 v13, v22 offset:3200
	ds_read_u16 v19, v22 offset:6400
	;; [unrolled: 1-line block ×19, first 2 shown]
	s_waitcnt lgkmcnt(0)
	s_barrier
	buffer_gl0_inv
	ds_write2_b32 v9, v0, v1 offset1:1
	ds_write2_b32 v9, v8, v5 offset0:2 offset1:3
	v_sub_nc_u16 v5, v21, v10
	v_mov_b32_e32 v0, 9
	v_add_f16_e32 v24, v31, v12
	v_sub_f16_e32 v12, v31, v12
	v_pack_b32_f16 v1, v29, v44
	v_pack_b32_f16 v8, v28, v53
	v_mul_u32_u24_sdwa v20, v5, v0 dst_sel:DWORD dst_unused:UNUSED_PAD src0_sel:BYTE_0 src1_sel:DWORD
	v_pack_b32_f16 v10, v23, v24
	v_pack_b32_f16 v12, v12, v30
	;; [unrolled: 1-line block ×4, first 2 shown]
	ds_write_b32 v9, v1 offset:16
	ds_write2_b32 v11, v10, v8 offset1:1
	ds_write2_b32 v14, v7, v12 offset1:1
	v_lshlrev_b32_e32 v8, 2, v20
	v_add_nc_u32_e32 v1, 0xc8, v21
	ds_write_b32 v9, v6 offset:4016
	v_mov_b32_e32 v6, 0xcccd
	s_waitcnt lgkmcnt(0)
	s_barrier
	buffer_gl0_inv
	s_clause 0x1
	global_load_dwordx4 v[9:12], v8, s[12:13]
	global_load_dwordx4 v[23:26], v8, s[12:13] offset:16
	v_mul_u32_u24_sdwa v6, v1, v6 dst_sel:DWORD dst_unused:UNUSED_PAD src0_sel:WORD_0 src1_sel:DWORD
	global_load_dword v20, v8, s[12:13] offset:32
	v_cmp_gt_u32_e64 s0, 0x64, v21
	v_lshrrev_b32_e32 v6, 19, v6
	v_mul_lo_u16 v7, v6, 10
	v_sub_nc_u16 v7, v1, v7
	v_mul_u32_u24_sdwa v14, v7, v0 dst_sel:DWORD dst_unused:UNUSED_PAD src0_sel:WORD_0 src1_sel:DWORD
	v_lshlrev_b32_e32 v8, 2, v14
	s_clause 0x2
	global_load_dwordx4 v[27:30], v8, s[12:13]
	global_load_dwordx4 v[31:34], v8, s[12:13] offset:16
	global_load_dword v41, v8, s[12:13] offset:32
	ds_read_u16 v14, v22 offset:800
	ds_read_u16 v42, v22 offset:1600
	;; [unrolled: 1-line block ×17, first 2 shown]
	s_waitcnt vmcnt(5) lgkmcnt(16)
	v_mul_f16_sdwa v65, v14, v9 dst_sel:DWORD dst_unused:UNUSED_PAD src0_sel:DWORD src1_sel:WORD_1
	v_mul_f16_sdwa v66, v40, v9 dst_sel:DWORD dst_unused:UNUSED_PAD src0_sel:DWORD src1_sel:WORD_1
	s_waitcnt lgkmcnt(15)
	v_mul_f16_sdwa v67, v42, v10 dst_sel:DWORD dst_unused:UNUSED_PAD src0_sel:DWORD src1_sel:WORD_1
	v_mul_f16_sdwa v70, v38, v10 dst_sel:DWORD dst_unused:UNUSED_PAD src0_sel:DWORD src1_sel:WORD_1
	v_fmac_f16_e32 v65, v40, v9
	v_fma_f16 v40, v14, v9, -v66
	ds_read_u16 v71, v22 offset:7600
	ds_read_u16 v14, v22 offset:7200
	v_fmac_f16_e32 v67, v38, v10
	s_waitcnt lgkmcnt(14)
	v_mul_f16_sdwa v38, v47, v11 dst_sel:DWORD dst_unused:UNUSED_PAD src0_sel:DWORD src1_sel:WORD_1
	v_mul_f16_sdwa v9, v36, v11 dst_sel:DWORD dst_unused:UNUSED_PAD src0_sel:DWORD src1_sel:WORD_1
	v_fma_f16 v42, v42, v10, -v70
	v_mul_f16_sdwa v10, v13, v12 dst_sel:DWORD dst_unused:UNUSED_PAD src0_sel:DWORD src1_sel:WORD_1
	s_waitcnt vmcnt(4) lgkmcnt(7)
	v_mul_f16_sdwa v70, v61, v24 dst_sel:DWORD dst_unused:UNUSED_PAD src0_sel:DWORD src1_sel:WORD_1
	v_mul_f16_sdwa v66, v43, v12 dst_sel:DWORD dst_unused:UNUSED_PAD src0_sel:DWORD src1_sel:WORD_1
	v_fmac_f16_e32 v38, v36, v11
	v_fma_f16 v36, v47, v11, -v9
	s_waitcnt lgkmcnt(5)
	v_mul_f16_sdwa v47, v63, v23 dst_sel:DWORD dst_unused:UNUSED_PAD src0_sel:DWORD src1_sel:WORD_1
	v_mul_f16_sdwa v9, v51, v23 dst_sel:DWORD dst_unused:UNUSED_PAD src0_sel:DWORD src1_sel:WORD_1
	v_fma_f16 v43, v43, v12, -v10
	v_mul_f16_sdwa v10, v49, v24 dst_sel:DWORD dst_unused:UNUSED_PAD src0_sel:DWORD src1_sel:WORD_1
	v_fmac_f16_e32 v70, v49, v24
	v_mul_f16_sdwa v49, v59, v25 dst_sel:DWORD dst_unused:UNUSED_PAD src0_sel:DWORD src1_sel:WORD_1
	v_fmac_f16_e32 v47, v51, v23
	v_fma_f16 v23, v63, v23, -v9
	v_fma_f16 v24, v61, v24, -v10
	v_mul_f16_sdwa v9, v46, v25 dst_sel:DWORD dst_unused:UNUSED_PAD src0_sel:DWORD src1_sel:WORD_1
	s_waitcnt lgkmcnt(3)
	v_mul_f16_sdwa v51, v68, v26 dst_sel:DWORD dst_unused:UNUSED_PAD src0_sel:DWORD src1_sel:WORD_1
	v_mul_f16_sdwa v10, v19, v26 dst_sel:DWORD dst_unused:UNUSED_PAD src0_sel:DWORD src1_sel:WORD_1
	v_fmac_f16_e32 v49, v46, v25
	s_waitcnt vmcnt(3) lgkmcnt(0)
	v_mul_f16_sdwa v46, v14, v20 dst_sel:DWORD dst_unused:UNUSED_PAD src0_sel:DWORD src1_sel:WORD_1
	v_mul_f16_sdwa v11, v57, v20 dst_sel:DWORD dst_unused:UNUSED_PAD src0_sel:DWORD src1_sel:WORD_1
	v_fma_f16 v25, v59, v25, -v9
	v_fmac_f16_e32 v51, v19, v26
	v_fma_f16 v26, v68, v26, -v10
	v_fmac_f16_e32 v46, v57, v20
	s_waitcnt vmcnt(2)
	v_mul_f16_sdwa v9, v54, v27 dst_sel:DWORD dst_unused:UNUSED_PAD src0_sel:DWORD src1_sel:WORD_1
	v_fma_f16 v20, v14, v20, -v11
	v_mul_f16_sdwa v10, v39, v27 dst_sel:DWORD dst_unused:UNUSED_PAD src0_sel:DWORD src1_sel:WORD_1
	v_mul_f16_sdwa v11, v37, v28 dst_sel:DWORD dst_unused:UNUSED_PAD src0_sel:DWORD src1_sel:WORD_1
	;; [unrolled: 1-line block ×3, first 2 shown]
	v_fmac_f16_e32 v9, v39, v27
	v_fmac_f16_e32 v66, v13, v12
	v_fma_f16 v10, v54, v27, -v10
	v_fma_f16 v27, v53, v28, -v11
	v_mul_f16_sdwa v11, v35, v29 dst_sel:DWORD dst_unused:UNUSED_PAD src0_sel:DWORD src1_sel:WORD_1
	v_mul_f16_sdwa v57, v53, v28 dst_sel:DWORD dst_unused:UNUSED_PAD src0_sel:DWORD src1_sel:WORD_1
	v_fmac_f16_e32 v14, v35, v29
	v_mul_f16_sdwa v12, v52, v30 dst_sel:DWORD dst_unused:UNUSED_PAD src0_sel:DWORD src1_sel:WORD_1
	s_waitcnt vmcnt(1)
	v_mul_f16_sdwa v19, v62, v31 dst_sel:DWORD dst_unused:UNUSED_PAD src0_sel:DWORD src1_sel:WORD_1
	v_fma_f16 v13, v44, v29, -v11
	ds_read_u16 v29, v22
	v_fmac_f16_e32 v57, v37, v28
	v_mul_f16_sdwa v28, v64, v30 dst_sel:DWORD dst_unused:UNUSED_PAD src0_sel:DWORD src1_sel:WORD_1
	v_mul_f16_sdwa v11, v50, v31 dst_sel:DWORD dst_unused:UNUSED_PAD src0_sel:DWORD src1_sel:WORD_1
	;; [unrolled: 1-line block ×4, first 2 shown]
	v_fmac_f16_e32 v19, v50, v31
	v_fmac_f16_e32 v28, v52, v30
	v_fma_f16 v30, v64, v30, -v12
	v_mul_f16_sdwa v39, v55, v33 dst_sel:DWORD dst_unused:UNUSED_PAD src0_sel:DWORD src1_sel:WORD_1
	v_mul_f16_sdwa v44, v45, v33 dst_sel:DWORD dst_unused:UNUSED_PAD src0_sel:DWORD src1_sel:WORD_1
	v_fma_f16 v12, v62, v31, -v11
	v_fmac_f16_e32 v35, v48, v32
	v_fma_f16 v31, v60, v32, -v37
	v_add_f16_e32 v32, v66, v70
	v_fmac_f16_e32 v39, v45, v33
	v_fma_f16 v11, v55, v33, -v44
	v_mul_f16_sdwa v33, v69, v34 dst_sel:DWORD dst_unused:UNUSED_PAD src0_sel:DWORD src1_sel:WORD_1
	v_mul_f16_sdwa v37, v58, v34 dst_sel:DWORD dst_unused:UNUSED_PAD src0_sel:DWORD src1_sel:WORD_1
	s_waitcnt vmcnt(0)
	v_mul_f16_sdwa v44, v71, v41 dst_sel:DWORD dst_unused:UNUSED_PAD src0_sel:DWORD src1_sel:WORD_1
	v_add_f16_e32 v45, v2, v67
	v_fma_f16 v32, -0.5, v32, v2
	v_sub_f16_e32 v48, v42, v26
	v_add_f16_e32 v54, v67, v51
	v_fmac_f16_e32 v33, v58, v34
	v_fma_f16 v34, v69, v34, -v37
	v_fmac_f16_e32 v44, v56, v41
	v_add_f16_e32 v37, v45, v66
	v_fmamk_f16 v45, v48, 0xbb9c, v32
	v_sub_f16_e32 v50, v43, v24
	v_sub_f16_e32 v52, v67, v66
	;; [unrolled: 1-line block ×3, first 2 shown]
	v_mul_f16_sdwa v55, v56, v41 dst_sel:DWORD dst_unused:UNUSED_PAD src0_sel:DWORD src1_sel:WORD_1
	v_fmac_f16_e32 v2, -0.5, v54
	v_fmac_f16_e32 v32, 0x3b9c, v48
	s_waitcnt lgkmcnt(0)
	v_add_f16_e32 v56, v29, v42
	v_fmac_f16_e32 v45, 0xb8b4, v50
	v_add_f16_e32 v52, v52, v53
	v_fmamk_f16 v53, v50, 0x3b9c, v2
	v_fmac_f16_e32 v32, 0x38b4, v50
	v_fmac_f16_e32 v2, 0xbb9c, v50
	v_add_f16_e32 v50, v56, v43
	v_fma_f16 v41, v71, v41, -v55
	v_fmac_f16_e32 v45, 0x34f2, v52
	v_sub_f16_e32 v54, v66, v67
	v_sub_f16_e32 v55, v70, v51
	v_add_f16_e32 v58, v43, v24
	v_fmac_f16_e32 v53, 0xb8b4, v48
	v_fmac_f16_e32 v32, 0x34f2, v52
	;; [unrolled: 1-line block ×3, first 2 shown]
	v_add_f16_e32 v48, v50, v24
	v_add_f16_e32 v52, v42, v26
	;; [unrolled: 1-line block ×4, first 2 shown]
	v_fma_f16 v55, -0.5, v58, v29
	v_sub_f16_e32 v56, v66, v70
	v_sub_f16_e32 v59, v26, v24
	v_fmac_f16_e32 v29, -0.5, v52
	v_add_f16_e32 v48, v48, v26
	v_sub_f16_e32 v24, v24, v26
	v_add_f16_e32 v26, v65, v38
	v_add_f16_e32 v37, v37, v51
	v_sub_f16_e32 v51, v67, v51
	v_fmac_f16_e32 v53, 0x34f2, v54
	v_sub_f16_e32 v58, v42, v43
	v_fmac_f16_e32 v2, 0x34f2, v54
	v_fmamk_f16 v54, v56, 0xbb9c, v29
	v_sub_f16_e32 v42, v43, v42
	v_fmac_f16_e32 v29, 0x3b9c, v56
	v_add_f16_e32 v26, v26, v47
	v_add_f16_e32 v43, v38, v46
	v_fmac_f16_e32 v54, 0x38b4, v51
	v_add_f16_e32 v24, v42, v24
	v_add_f16_e32 v42, v47, v49
	v_fmac_f16_e32 v29, 0xb8b4, v51
	v_add_f16_e32 v26, v26, v49
	v_fmamk_f16 v50, v51, 0x3b9c, v55
	v_fmac_f16_e32 v55, 0xbb9c, v51
	v_fmac_f16_e32 v54, 0x34f2, v24
	v_fma_f16 v42, -0.5, v42, v65
	v_sub_f16_e32 v51, v36, v20
	v_fmac_f16_e32 v29, 0x34f2, v24
	v_add_f16_e32 v24, v26, v46
	v_sub_f16_e32 v26, v23, v25
	v_fmac_f16_e32 v65, -0.5, v43
	v_fmac_f16_e32 v50, 0x38b4, v56
	v_add_f16_e32 v52, v58, v59
	v_fmac_f16_e32 v55, 0xb8b4, v56
	v_fmamk_f16 v43, v51, 0xbb9c, v42
	v_fmac_f16_e32 v42, 0x3b9c, v51
	v_fmamk_f16 v58, v26, 0x3b9c, v65
	v_fmac_f16_e32 v65, 0xbb9c, v26
	v_fmac_f16_e32 v50, 0x34f2, v52
	;; [unrolled: 1-line block ×3, first 2 shown]
	v_sub_f16_e32 v52, v38, v47
	v_sub_f16_e32 v56, v46, v49
	;; [unrolled: 1-line block ×4, first 2 shown]
	v_fmac_f16_e32 v43, 0xb8b4, v26
	v_fmac_f16_e32 v42, 0x38b4, v26
	;; [unrolled: 1-line block ×3, first 2 shown]
	v_add_f16_e32 v26, v23, v25
	v_fmac_f16_e32 v65, 0x38b4, v51
	v_add_f16_e32 v51, v36, v20
	v_add_f16_e32 v52, v52, v56
	;; [unrolled: 1-line block ×3, first 2 shown]
	v_fma_f16 v26, -0.5, v26, v40
	v_sub_f16_e32 v38, v38, v46
	v_add_f16_e32 v46, v40, v36
	v_sub_f16_e32 v47, v47, v49
	v_fmac_f16_e32 v40, -0.5, v51
	v_fmac_f16_e32 v43, 0x34f2, v52
	v_fmac_f16_e32 v42, 0x34f2, v52
	;; [unrolled: 1-line block ×4, first 2 shown]
	v_fmamk_f16 v49, v38, 0x3b9c, v26
	v_sub_f16_e32 v51, v36, v23
	v_sub_f16_e32 v52, v20, v25
	v_fmamk_f16 v56, v47, 0xbb9c, v40
	v_sub_f16_e32 v36, v23, v36
	v_sub_f16_e32 v59, v25, v20
	v_fmac_f16_e32 v40, 0x3b9c, v47
	v_fmac_f16_e32 v26, 0xbb9c, v38
	v_add_f16_e32 v51, v51, v52
	v_fmac_f16_e32 v56, 0x38b4, v38
	v_add_f16_e32 v36, v36, v59
	;; [unrolled: 2-line block ×3, first 2 shown]
	v_fmac_f16_e32 v26, 0xb8b4, v47
	v_fmac_f16_e32 v49, 0x38b4, v47
	;; [unrolled: 1-line block ×4, first 2 shown]
	v_add_f16_e32 v23, v23, v25
	v_fmac_f16_e32 v26, 0x34f2, v51
	v_fmac_f16_e32 v49, 0x34f2, v51
	v_mul_f16_e32 v36, 0xbb9c, v56
	v_mul_f16_e32 v38, 0xbb9c, v40
	v_add_f16_e32 v20, v23, v20
	v_mul_f16_e32 v23, 0xb8b4, v26
	v_mul_f16_e32 v56, 0x34f2, v56
	;; [unrolled: 1-line block ×3, first 2 shown]
	v_fmac_f16_e32 v38, 0xb4f2, v65
	v_add_f16_e32 v46, v37, v24
	v_fmac_f16_e32 v23, 0xba79, v42
	v_mul_f16_e32 v49, 0x3a79, v49
	v_mul_f16_e32 v26, 0xba79, v26
	v_fmac_f16_e32 v56, 0x3b9c, v58
	v_sub_f16_e32 v24, v37, v24
	v_add_f16_e32 v37, v28, v35
	v_fmac_f16_e32 v25, 0x3a79, v43
	v_fmac_f16_e32 v36, 0x34f2, v58
	v_add_f16_e32 v52, v2, v38
	v_mul_f16_e32 v40, 0xb4f2, v40
	v_add_f16_e32 v59, v32, v23
	v_fmac_f16_e32 v49, 0x38b4, v43
	v_fmac_f16_e32 v26, 0x38b4, v42
	v_add_f16_e32 v42, v48, v20
	v_add_f16_e32 v58, v54, v56
	v_sub_f16_e32 v38, v2, v38
	v_sub_f16_e32 v23, v32, v23
	v_add_f16_e32 v2, v3, v57
	v_fma_f16 v32, -0.5, v37, v3
	v_sub_f16_e32 v37, v27, v34
	v_sub_f16_e32 v20, v48, v20
	;; [unrolled: 1-line block ×3, first 2 shown]
	v_add_f16_e32 v56, v57, v33
	v_add_f16_e32 v47, v45, v25
	;; [unrolled: 1-line block ×3, first 2 shown]
	v_fmac_f16_e32 v40, 0x3b9c, v65
	v_add_f16_e32 v43, v50, v49
	v_sub_f16_e32 v25, v45, v25
	v_sub_f16_e32 v36, v53, v36
	;; [unrolled: 1-line block ×3, first 2 shown]
	v_add_f16_e32 v2, v2, v28
	v_fmamk_f16 v49, v37, 0xbb9c, v32
	v_sub_f16_e32 v50, v30, v31
	v_sub_f16_e32 v53, v57, v28
	;; [unrolled: 1-line block ×3, first 2 shown]
	v_fmac_f16_e32 v3, -0.5, v56
	v_fmac_f16_e32 v32, 0x3b9c, v37
	v_add_f16_e32 v56, v8, v27
	v_add_f16_e32 v60, v29, v40
	v_add_f16_e32 v61, v55, v26
	v_sub_f16_e32 v29, v29, v40
	v_add_f16_e32 v2, v2, v35
	v_fmac_f16_e32 v49, 0xb8b4, v50
	v_add_f16_e32 v40, v53, v54
	v_sub_f16_e32 v26, v55, v26
	v_fmamk_f16 v53, v50, 0x3b9c, v3
	v_sub_f16_e32 v54, v28, v57
	v_sub_f16_e32 v55, v35, v33
	v_fmac_f16_e32 v32, 0x38b4, v50
	v_add_f16_e32 v62, v30, v31
	v_fmac_f16_e32 v3, 0xbb9c, v50
	v_add_f16_e32 v50, v56, v30
	v_add_f16_e32 v2, v2, v33
	v_fmac_f16_e32 v53, 0xb8b4, v37
	v_add_f16_e32 v54, v54, v55
	v_fma_f16 v55, -0.5, v62, v8
	v_sub_f16_e32 v33, v57, v33
	v_fmac_f16_e32 v3, 0x38b4, v37
	v_add_f16_e32 v37, v50, v31
	v_add_f16_e32 v50, v27, v34
	v_fmac_f16_e32 v49, 0x34f2, v40
	v_fmac_f16_e32 v32, 0x34f2, v40
	v_fmamk_f16 v40, v33, 0x3b9c, v55
	v_sub_f16_e32 v28, v28, v35
	v_sub_f16_e32 v35, v27, v30
	;; [unrolled: 1-line block ×3, first 2 shown]
	v_fmac_f16_e32 v8, -0.5, v50
	v_fmac_f16_e32 v55, 0xbb9c, v33
	v_sub_f16_e32 v27, v30, v27
	v_sub_f16_e32 v30, v31, v34
	v_add_f16_e32 v31, v9, v14
	v_fmac_f16_e32 v40, 0x38b4, v28
	v_fmamk_f16 v50, v28, 0xbb9c, v8
	v_fmac_f16_e32 v55, 0xb8b4, v28
	v_add_f16_e32 v27, v27, v30
	v_fmac_f16_e32 v8, 0x3b9c, v28
	v_add_f16_e32 v28, v31, v19
	v_add_f16_e32 v30, v19, v39
	v_fmac_f16_e32 v50, 0x38b4, v33
	v_add_f16_e32 v31, v14, v44
	v_fmac_f16_e32 v8, 0xb8b4, v33
	v_add_f16_e32 v28, v28, v39
	v_fma_f16 v30, -0.5, v30, v9
	v_sub_f16_e32 v33, v13, v41
	v_add_f16_e32 v35, v35, v56
	v_fmac_f16_e32 v50, 0x34f2, v27
	v_fmac_f16_e32 v8, 0x34f2, v27
	v_add_f16_e32 v27, v28, v44
	v_sub_f16_e32 v28, v12, v11
	v_fmac_f16_e32 v9, -0.5, v31
	v_fmamk_f16 v31, v33, 0xbb9c, v30
	v_fmac_f16_e32 v30, 0x3b9c, v33
	v_fmac_f16_e32 v53, 0x34f2, v54
	;; [unrolled: 1-line block ×3, first 2 shown]
	v_add_f16_e32 v37, v37, v34
	v_fmac_f16_e32 v40, 0x34f2, v35
	v_fmac_f16_e32 v55, 0x34f2, v35
	v_sub_f16_e32 v34, v14, v19
	v_sub_f16_e32 v35, v44, v39
	v_fmamk_f16 v54, v28, 0x3b9c, v9
	v_sub_f16_e32 v56, v19, v14
	v_sub_f16_e32 v57, v39, v44
	v_fmac_f16_e32 v31, 0xb8b4, v28
	v_fmac_f16_e32 v30, 0x38b4, v28
	;; [unrolled: 1-line block ×3, first 2 shown]
	v_add_f16_e32 v28, v12, v11
	v_add_f16_e32 v34, v34, v35
	v_fmac_f16_e32 v54, 0xb8b4, v33
	v_add_f16_e32 v35, v56, v57
	v_fmac_f16_e32 v9, 0x38b4, v33
	v_add_f16_e32 v33, v13, v41
	v_fma_f16 v28, -0.5, v28, v10
	v_sub_f16_e32 v14, v14, v44
	v_fmac_f16_e32 v31, 0x34f2, v34
	v_fmac_f16_e32 v30, 0x34f2, v34
	;; [unrolled: 1-line block ×3, first 2 shown]
	v_add_f16_e32 v34, v10, v13
	v_sub_f16_e32 v19, v19, v39
	v_fmac_f16_e32 v10, -0.5, v33
	v_fmac_f16_e32 v9, 0x34f2, v35
	v_fmamk_f16 v33, v14, 0x3b9c, v28
	v_sub_f16_e32 v35, v13, v12
	v_sub_f16_e32 v39, v41, v11
	;; [unrolled: 1-line block ×3, first 2 shown]
	v_add_f16_e32 v12, v34, v12
	v_fmac_f16_e32 v33, 0x38b4, v19
	v_sub_f16_e32 v56, v11, v41
	v_add_f16_e32 v35, v35, v39
	v_fmac_f16_e32 v28, 0xbb9c, v14
	v_add_f16_e32 v11, v12, v11
	v_fmamk_f16 v44, v19, 0xbb9c, v10
	v_fmac_f16_e32 v10, 0x3b9c, v19
	v_fmac_f16_e32 v33, 0x34f2, v35
	;; [unrolled: 1-line block ×3, first 2 shown]
	v_add_f16_e32 v13, v13, v56
	v_add_f16_e32 v34, v2, v27
	v_fmac_f16_e32 v10, 0xb8b4, v14
	v_mul_f16_e32 v12, 0xb8b4, v33
	v_fmac_f16_e32 v28, 0x34f2, v35
	v_sub_f16_e32 v27, v2, v27
	v_mov_b32_e32 v2, 1
	v_fmac_f16_e32 v44, 0x38b4, v14
	v_fmac_f16_e32 v12, 0x3a79, v31
	;; [unrolled: 1-line block ×3, first 2 shown]
	v_add_f16_e32 v11, v11, v41
	v_lshlrev_b32_sdwa v5, v2, v5 dst_sel:DWORD dst_unused:UNUSED_PAD src0_sel:DWORD src1_sel:BYTE_0
	v_fmac_f16_e32 v44, 0x34f2, v13
	v_add_f16_e32 v35, v49, v12
	v_sub_f16_e32 v12, v49, v12
	v_mov_b32_e32 v49, 0xc8
	v_mul_f16_e32 v14, 0xbb9c, v10
	v_mul_f16_e32 v10, 0xb4f2, v10
	;; [unrolled: 1-line block ×4, first 2 shown]
	v_mul_u32_u24_sdwa v4, v4, v49 dst_sel:DWORD dst_unused:UNUSED_PAD src0_sel:WORD_0 src1_sel:DWORD
	v_fmac_f16_e32 v14, 0xb4f2, v9
	v_mul_f16_e32 v33, 0x3a79, v33
	v_mul_f16_e32 v44, 0x34f2, v44
	;; [unrolled: 1-line block ×3, first 2 shown]
	v_add3_u32 v5, 0, v4, v5
	v_mul_u32_u24_e32 v4, 0xc8, v6
	v_lshlrev_b32_sdwa v6, v2, v7 dst_sel:DWORD dst_unused:UNUSED_PAD src0_sel:DWORD src1_sel:WORD_0
	v_fmac_f16_e32 v10, 0x3b9c, v9
	v_add_f16_e32 v9, v37, v11
	v_sub_f16_e32 v11, v37, v11
	v_fmac_f16_e32 v13, 0x34f2, v54
	v_add3_u32 v37, 0, v4, v6
	v_add_nc_u32_e32 v4, 0xffffff9c, v21
	v_fmac_f16_e32 v19, 0xba79, v30
	v_fmac_f16_e32 v33, 0x38b4, v31
	;; [unrolled: 1-line block ×4, first 2 shown]
	v_cndmask_b32_e64 v4, v4, v21, s0
	v_add_f16_e32 v39, v53, v13
	v_add_f16_e32 v41, v3, v14
	;; [unrolled: 1-line block ×3, first 2 shown]
	v_sub_f16_e32 v3, v3, v14
	v_add_f16_e32 v30, v40, v33
	v_add_f16_e32 v31, v50, v44
	;; [unrolled: 1-line block ×3, first 2 shown]
	v_sub_f16_e32 v13, v53, v13
	v_sub_f16_e32 v14, v32, v19
	v_sub_f16_e32 v32, v40, v33
	v_sub_f16_e32 v33, v50, v44
	v_sub_f16_e32 v28, v55, v28
	s_barrier
	buffer_gl0_inv
	ds_write_b16 v5, v46
	ds_write_b16 v5, v47 offset:20
	ds_write_b16 v5, v51 offset:40
	;; [unrolled: 1-line block ×9, first 2 shown]
	ds_write_b16 v37, v34
	ds_write_b16 v37, v35 offset:20
	ds_write_b16 v37, v39 offset:40
	;; [unrolled: 1-line block ×9, first 2 shown]
	s_waitcnt lgkmcnt(0)
	s_barrier
	buffer_gl0_inv
	ds_read_u16 v6, v22
	ds_read_u16 v34, v22 offset:3200
	ds_read_u16 v35, v22 offset:6400
	;; [unrolled: 1-line block ×19, first 2 shown]
	s_waitcnt lgkmcnt(0)
	s_barrier
	buffer_gl0_inv
	ds_write_b16 v5, v42
	ds_write_b16 v5, v43 offset:20
	ds_write_b16 v5, v58 offset:40
	;; [unrolled: 1-line block ×6, first 2 shown]
	v_mul_i32_i24_e32 v19, 9, v4
	v_mov_b32_e32 v20, 0
	v_add_f16_e32 v54, v8, v10
	v_sub_f16_e32 v10, v8, v10
	ds_write_b16 v5, v48 offset:140
	ds_write_b16 v5, v29 offset:160
	;; [unrolled: 1-line block ×3, first 2 shown]
	ds_write_b16 v37, v9
	ds_write_b16 v37, v30 offset:20
	ds_write_b16 v37, v31 offset:40
	;; [unrolled: 1-line block ×4, first 2 shown]
	v_lshlrev_b64 v[7:8], 2, v[19:20]
	ds_write_b16 v37, v11 offset:100
	ds_write_b16 v37, v32 offset:120
	;; [unrolled: 1-line block ×4, first 2 shown]
	v_lshrrev_b16 v5, 2, v1
	v_mov_b32_e32 v11, 0x147b
	ds_write_b16 v37, v28 offset:180
	s_waitcnt lgkmcnt(0)
	v_add_co_u32 v23, s0, s12, v7
	v_add_co_ci_u32_e64 v24, s0, s13, v8, s0
	v_mul_u32_u24_sdwa v5, v5, v11 dst_sel:DWORD dst_unused:UNUSED_PAD src0_sel:WORD_0 src1_sel:DWORD
	s_barrier
	buffer_gl0_inv
	s_clause 0x1
	global_load_dwordx4 v[7:10], v[23:24], off offset:360
	global_load_dwordx4 v[11:14], v[23:24], off offset:376
	v_lshrrev_b32_e32 v5, 17, v5
	v_cmp_lt_u32_e64 s0, 0x63, v21
	v_lshlrev_b32_e32 v4, 1, v4
	v_mul_lo_u16 v19, 0x64, v5
	v_mul_u32_u24_e32 v5, 0x7d0, v5
	v_sub_nc_u16 v1, v1, v19
	global_load_dword v19, v[23:24], off offset:392
	v_mul_u32_u24_sdwa v0, v1, v0 dst_sel:DWORD dst_unused:UNUSED_PAD src0_sel:WORD_0 src1_sel:DWORD
	v_lshlrev_b32_sdwa v1, v2, v1 dst_sel:DWORD dst_unused:UNUSED_PAD src0_sel:DWORD src1_sel:WORD_0
	v_lshlrev_b32_e32 v0, 2, v0
	s_clause 0x2
	global_load_dwordx4 v[23:26], v0, s[12:13] offset:360
	global_load_dwordx4 v[27:30], v0, s[12:13] offset:376
	global_load_dword v31, v0, s[12:13] offset:392
	ds_read_u16 v32, v22 offset:800
	ds_read_u16 v33, v22 offset:1600
	;; [unrolled: 1-line block ×19, first 2 shown]
	v_add3_u32 v1, 0, v5, v1
	s_waitcnt vmcnt(5) lgkmcnt(18)
	v_mul_f16_sdwa v54, v32, v7 dst_sel:DWORD dst_unused:UNUSED_PAD src0_sel:DWORD src1_sel:WORD_1
	v_mul_f16_sdwa v57, v44, v7 dst_sel:DWORD dst_unused:UNUSED_PAD src0_sel:DWORD src1_sel:WORD_1
	s_waitcnt lgkmcnt(17)
	v_mul_f16_sdwa v66, v33, v8 dst_sel:DWORD dst_unused:UNUSED_PAD src0_sel:DWORD src1_sel:WORD_1
	v_fmac_f16_e32 v54, v44, v7
	v_fma_f16 v32, v32, v7, -v57
	v_mul_f16_sdwa v7, v40, v8 dst_sel:DWORD dst_unused:UNUSED_PAD src0_sel:DWORD src1_sel:WORD_1
	s_waitcnt lgkmcnt(16)
	v_mul_f16_sdwa v44, v37, v9 dst_sel:DWORD dst_unused:UNUSED_PAD src0_sel:DWORD src1_sel:WORD_1
	v_fmac_f16_e32 v66, v40, v8
	v_mul_f16_sdwa v40, v38, v9 dst_sel:DWORD dst_unused:UNUSED_PAD src0_sel:DWORD src1_sel:WORD_1
	s_waitcnt lgkmcnt(14)
	v_mul_f16_sdwa v57, v43, v10 dst_sel:DWORD dst_unused:UNUSED_PAD src0_sel:DWORD src1_sel:WORD_1
	v_fma_f16 v33, v33, v8, -v7
	v_fmac_f16_e32 v44, v38, v9
	v_mul_f16_sdwa v7, v34, v10 dst_sel:DWORD dst_unused:UNUSED_PAD src0_sel:DWORD src1_sel:WORD_1
	s_waitcnt vmcnt(4) lgkmcnt(6)
	v_mul_f16_sdwa v38, v63, v12 dst_sel:DWORD dst_unused:UNUSED_PAD src0_sel:DWORD src1_sel:WORD_1
	v_fma_f16 v37, v37, v9, -v40
	v_fmac_f16_e32 v57, v34, v10
	v_mul_f16_sdwa v34, v58, v11 dst_sel:DWORD dst_unused:UNUSED_PAD src0_sel:DWORD src1_sel:WORD_1
	v_mul_f16_sdwa v8, v52, v11 dst_sel:DWORD dst_unused:UNUSED_PAD src0_sel:DWORD src1_sel:WORD_1
	v_fma_f16 v40, v43, v10, -v7
	v_mul_f16_sdwa v7, v50, v12 dst_sel:DWORD dst_unused:UNUSED_PAD src0_sel:DWORD src1_sel:WORD_1
	v_fmac_f16_e32 v38, v50, v12
	v_mul_f16_sdwa v50, v61, v13 dst_sel:DWORD dst_unused:UNUSED_PAD src0_sel:DWORD src1_sel:WORD_1
	v_fmac_f16_e32 v34, v52, v11
	v_fma_f16 v43, v58, v11, -v8
	v_fma_f16 v52, v63, v12, -v7
	v_mul_f16_sdwa v7, v47, v13 dst_sel:DWORD dst_unused:UNUSED_PAD src0_sel:DWORD src1_sel:WORD_1
	s_waitcnt lgkmcnt(3)
	v_mul_f16_sdwa v58, v67, v14 dst_sel:DWORD dst_unused:UNUSED_PAD src0_sel:DWORD src1_sel:WORD_1
	v_mul_f16_sdwa v8, v35, v14 dst_sel:DWORD dst_unused:UNUSED_PAD src0_sel:DWORD src1_sel:WORD_1
	v_fmac_f16_e32 v50, v47, v13
	s_waitcnt vmcnt(3) lgkmcnt(0)
	v_mul_f16_sdwa v47, v70, v19 dst_sel:DWORD dst_unused:UNUSED_PAD src0_sel:DWORD src1_sel:WORD_1
	v_mul_f16_sdwa v9, v56, v19 dst_sel:DWORD dst_unused:UNUSED_PAD src0_sel:DWORD src1_sel:WORD_1
	v_fma_f16 v61, v61, v13, -v7
	v_fmac_f16_e32 v58, v35, v14
	v_fma_f16 v14, v67, v14, -v8
	v_fmac_f16_e32 v47, v56, v19
	s_waitcnt vmcnt(2)
	v_mul_f16_sdwa v7, v48, v23 dst_sel:DWORD dst_unused:UNUSED_PAD src0_sel:DWORD src1_sel:WORD_1
	v_fma_f16 v19, v70, v19, -v9
	v_mul_f16_sdwa v8, v41, v23 dst_sel:DWORD dst_unused:UNUSED_PAD src0_sel:DWORD src1_sel:WORD_1
	v_mul_f16_sdwa v9, v39, v24 dst_sel:DWORD dst_unused:UNUSED_PAD src0_sel:DWORD src1_sel:WORD_1
	;; [unrolled: 1-line block ×3, first 2 shown]
	v_fmac_f16_e32 v7, v41, v23
	v_mul_f16_sdwa v35, v45, v24 dst_sel:DWORD dst_unused:UNUSED_PAD src0_sel:DWORD src1_sel:WORD_1
	v_fma_f16 v8, v48, v23, -v8
	v_fma_f16 v23, v45, v24, -v9
	v_mul_f16_sdwa v9, v36, v25 dst_sel:DWORD dst_unused:UNUSED_PAD src0_sel:DWORD src1_sel:WORD_1
	v_fmac_f16_e32 v12, v36, v25
	v_fmac_f16_e32 v35, v39, v24
	v_mul_f16_sdwa v24, v65, v26 dst_sel:DWORD dst_unused:UNUSED_PAD src0_sel:DWORD src1_sel:WORD_1
	v_mul_f16_sdwa v10, v53, v26 dst_sel:DWORD dst_unused:UNUSED_PAD src0_sel:DWORD src1_sel:WORD_1
	v_fma_f16 v11, v42, v25, -v9
	ds_read_u16 v25, v22
	s_waitcnt vmcnt(1)
	v_mul_f16_sdwa v13, v64, v27 dst_sel:DWORD dst_unused:UNUSED_PAD src0_sel:DWORD src1_sel:WORD_1
	v_mul_f16_sdwa v9, v51, v27 dst_sel:DWORD dst_unused:UNUSED_PAD src0_sel:DWORD src1_sel:WORD_1
	v_mul_f16_sdwa v36, v62, v28 dst_sel:DWORD dst_unused:UNUSED_PAD src0_sel:DWORD src1_sel:WORD_1
	v_mul_f16_sdwa v39, v49, v28 dst_sel:DWORD dst_unused:UNUSED_PAD src0_sel:DWORD src1_sel:WORD_1
	v_fmac_f16_e32 v24, v53, v26
	v_fma_f16 v26, v65, v26, -v10
	v_fmac_f16_e32 v13, v51, v27
	v_mul_f16_sdwa v41, v60, v29 dst_sel:DWORD dst_unused:UNUSED_PAD src0_sel:DWORD src1_sel:WORD_1
	v_mul_f16_sdwa v42, v46, v29 dst_sel:DWORD dst_unused:UNUSED_PAD src0_sel:DWORD src1_sel:WORD_1
	v_fma_f16 v10, v64, v27, -v9
	v_fmac_f16_e32 v36, v49, v28
	v_fma_f16 v27, v62, v28, -v39
	v_add_f16_e32 v28, v57, v38
	v_fmac_f16_e32 v41, v46, v29
	v_fma_f16 v9, v60, v29, -v42
	v_mul_f16_sdwa v29, v68, v30 dst_sel:DWORD dst_unused:UNUSED_PAD src0_sel:DWORD src1_sel:WORD_1
	v_mul_f16_sdwa v39, v59, v30 dst_sel:DWORD dst_unused:UNUSED_PAD src0_sel:DWORD src1_sel:WORD_1
	v_add_f16_e32 v45, v6, v66
	v_fma_f16 v28, -0.5, v28, v6
	v_sub_f16_e32 v46, v33, v14
	v_add_f16_e32 v53, v66, v58
	s_waitcnt vmcnt(0)
	v_mul_f16_sdwa v42, v69, v31 dst_sel:DWORD dst_unused:UNUSED_PAD src0_sel:DWORD src1_sel:WORD_1
	v_fmac_f16_e32 v29, v59, v30
	v_fma_f16 v30, v68, v30, -v39
	v_add_f16_e32 v39, v45, v57
	v_fmamk_f16 v45, v46, 0xbb9c, v28
	v_sub_f16_e32 v48, v40, v52
	v_sub_f16_e32 v49, v66, v57
	;; [unrolled: 1-line block ×3, first 2 shown]
	v_fmac_f16_e32 v6, -0.5, v53
	v_fmac_f16_e32 v28, 0x3b9c, v46
	s_waitcnt lgkmcnt(0)
	v_add_f16_e32 v56, v25, v33
	v_fmac_f16_e32 v42, v55, v31
	v_mul_f16_sdwa v55, v55, v31 dst_sel:DWORD dst_unused:UNUSED_PAD src0_sel:DWORD src1_sel:WORD_1
	v_fmac_f16_e32 v45, 0xb8b4, v48
	v_add_f16_e32 v49, v49, v51
	v_fmamk_f16 v51, v48, 0x3b9c, v6
	v_fmac_f16_e32 v28, 0x38b4, v48
	v_fmac_f16_e32 v6, 0xbb9c, v48
	v_add_f16_e32 v48, v56, v40
	v_add_f16_e32 v39, v39, v38
	v_fma_f16 v31, v69, v31, -v55
	v_fmac_f16_e32 v45, 0x34f2, v49
	v_sub_f16_e32 v53, v57, v66
	v_sub_f16_e32 v55, v38, v58
	v_add_f16_e32 v59, v40, v52
	v_fmac_f16_e32 v51, 0xb8b4, v46
	v_fmac_f16_e32 v28, 0x34f2, v49
	;; [unrolled: 1-line block ×3, first 2 shown]
	v_add_f16_e32 v46, v48, v52
	v_add_f16_e32 v49, v33, v14
	;; [unrolled: 1-line block ×4, first 2 shown]
	v_fma_f16 v55, -0.5, v59, v25
	v_sub_f16_e32 v56, v66, v58
	v_sub_f16_e32 v38, v57, v38
	;; [unrolled: 1-line block ×4, first 2 shown]
	v_fmac_f16_e32 v25, -0.5, v49
	v_add_f16_e32 v46, v46, v14
	v_sub_f16_e32 v33, v40, v33
	v_sub_f16_e32 v14, v52, v14
	v_add_f16_e32 v40, v54, v44
	v_fmac_f16_e32 v51, 0x34f2, v53
	v_fmamk_f16 v48, v56, 0x3b9c, v55
	v_fmac_f16_e32 v6, 0x34f2, v53
	v_fmac_f16_e32 v55, 0xbb9c, v56
	v_fmamk_f16 v53, v38, 0xbb9c, v25
	v_add_f16_e32 v14, v33, v14
	v_fmac_f16_e32 v25, 0x3b9c, v38
	v_add_f16_e32 v33, v40, v34
	v_fmac_f16_e32 v48, 0x38b4, v38
	;; [unrolled: 2-line block ×3, first 2 shown]
	v_fmac_f16_e32 v53, 0x38b4, v56
	v_add_f16_e32 v38, v34, v50
	v_fmac_f16_e32 v25, 0xb8b4, v56
	v_add_f16_e32 v33, v33, v50
	v_add_f16_e32 v40, v44, v47
	v_fmac_f16_e32 v48, 0x34f2, v49
	v_fmac_f16_e32 v55, 0x34f2, v49
	;; [unrolled: 1-line block ×3, first 2 shown]
	v_fma_f16 v38, -0.5, v38, v54
	v_sub_f16_e32 v49, v37, v19
	v_fmac_f16_e32 v25, 0x34f2, v14
	v_add_f16_e32 v14, v33, v47
	v_sub_f16_e32 v33, v43, v61
	v_fmac_f16_e32 v54, -0.5, v40
	v_fmamk_f16 v40, v49, 0xbb9c, v38
	v_fmac_f16_e32 v38, 0x3b9c, v49
	v_sub_f16_e32 v52, v44, v34
	v_sub_f16_e32 v56, v47, v50
	v_fmamk_f16 v57, v33, 0x3b9c, v54
	v_fmac_f16_e32 v54, 0xbb9c, v33
	v_sub_f16_e32 v58, v34, v44
	v_sub_f16_e32 v59, v50, v47
	v_fmac_f16_e32 v40, 0xb8b4, v33
	v_fmac_f16_e32 v38, 0x38b4, v33
	;; [unrolled: 1-line block ×3, first 2 shown]
	v_add_f16_e32 v33, v43, v61
	v_fmac_f16_e32 v54, 0x38b4, v49
	v_add_f16_e32 v49, v37, v19
	v_add_f16_e32 v52, v52, v56
	;; [unrolled: 1-line block ×3, first 2 shown]
	v_fma_f16 v33, -0.5, v33, v32
	v_sub_f16_e32 v44, v44, v47
	v_add_f16_e32 v47, v32, v37
	v_sub_f16_e32 v34, v34, v50
	v_fmac_f16_e32 v32, -0.5, v49
	v_fmac_f16_e32 v40, 0x34f2, v52
	v_fmac_f16_e32 v38, 0x34f2, v52
	;; [unrolled: 1-line block ×4, first 2 shown]
	v_fmamk_f16 v49, v44, 0x3b9c, v33
	v_sub_f16_e32 v50, v37, v43
	v_sub_f16_e32 v52, v19, v61
	v_fmamk_f16 v56, v34, 0xbb9c, v32
	v_sub_f16_e32 v37, v43, v37
	v_sub_f16_e32 v58, v61, v19
	v_fmac_f16_e32 v33, 0xbb9c, v44
	v_fmac_f16_e32 v32, 0x3b9c, v34
	v_add_f16_e32 v50, v50, v52
	v_fmac_f16_e32 v56, 0x38b4, v44
	v_add_f16_e32 v37, v37, v58
	v_add_f16_e32 v43, v47, v43
	v_fmac_f16_e32 v33, 0xb8b4, v34
	v_fmac_f16_e32 v49, 0x38b4, v34
	;; [unrolled: 1-line block ×4, first 2 shown]
	v_add_f16_e32 v34, v43, v61
	v_fmac_f16_e32 v33, 0x34f2, v50
	v_fmac_f16_e32 v49, 0x34f2, v50
	;; [unrolled: 1-line block ×3, first 2 shown]
	v_mul_f16_e32 v43, 0xbb9c, v56
	v_add_f16_e32 v19, v34, v19
	v_mul_f16_e32 v34, 0xb8b4, v33
	v_mul_f16_e32 v37, 0xb8b4, v49
	;; [unrolled: 1-line block ×3, first 2 shown]
	v_fmac_f16_e32 v43, 0x34f2, v57
	v_mul_f16_e32 v49, 0x3a79, v49
	v_fmac_f16_e32 v34, 0xba79, v38
	v_mul_f16_e32 v33, 0xba79, v33
	v_fmac_f16_e32 v44, 0xb4f2, v54
	v_add_f16_e32 v47, v39, v14
	v_add_f16_e32 v52, v51, v43
	v_mul_f16_e32 v56, 0x34f2, v56
	v_mul_f16_e32 v32, 0xb4f2, v32
	v_add_f16_e32 v59, v28, v34
	v_fmac_f16_e32 v49, 0x38b4, v40
	v_fmac_f16_e32 v33, 0x38b4, v38
	v_sub_f16_e32 v14, v39, v14
	v_add_f16_e32 v38, v24, v36
	v_sub_f16_e32 v39, v51, v43
	v_sub_f16_e32 v28, v28, v34
	v_add_f16_e32 v34, v3, v35
	v_add_f16_e32 v51, v35, v29
	v_fmac_f16_e32 v37, 0x3a79, v40
	v_add_f16_e32 v58, v6, v44
	v_fmac_f16_e32 v56, 0x3b9c, v57
	v_fmac_f16_e32 v32, 0x3b9c, v54
	v_add_f16_e32 v54, v46, v19
	v_add_f16_e32 v57, v48, v49
	v_sub_f16_e32 v6, v6, v44
	v_fma_f16 v38, -0.5, v38, v3
	v_sub_f16_e32 v40, v23, v30
	v_sub_f16_e32 v19, v46, v19
	;; [unrolled: 1-line block ×3, first 2 shown]
	v_add_f16_e32 v34, v34, v24
	v_sub_f16_e32 v46, v26, v27
	v_sub_f16_e32 v48, v35, v24
	;; [unrolled: 1-line block ×3, first 2 shown]
	v_fmac_f16_e32 v3, -0.5, v51
	v_add_f16_e32 v50, v45, v37
	v_add_f16_e32 v60, v53, v56
	;; [unrolled: 1-line block ×4, first 2 shown]
	v_sub_f16_e32 v37, v45, v37
	v_sub_f16_e32 v45, v53, v56
	v_fmamk_f16 v43, v40, 0xbb9c, v38
	v_sub_f16_e32 v53, v25, v32
	v_add_f16_e32 v25, v34, v36
	v_add_f16_e32 v32, v48, v49
	v_sub_f16_e32 v48, v55, v33
	v_fmac_f16_e32 v38, 0x3b9c, v40
	v_fmamk_f16 v33, v46, 0x3b9c, v3
	v_sub_f16_e32 v34, v24, v35
	v_sub_f16_e32 v49, v36, v29
	v_add_f16_e32 v51, v0, v23
	v_add_f16_e32 v55, v26, v27
	v_fmac_f16_e32 v3, 0xbb9c, v46
	v_fmac_f16_e32 v43, 0xb8b4, v46
	v_add_f16_e32 v25, v25, v29
	v_fmac_f16_e32 v38, 0x38b4, v46
	v_fmac_f16_e32 v33, 0xb8b4, v40
	v_add_f16_e32 v34, v34, v49
	v_add_f16_e32 v46, v51, v26
	v_fma_f16 v49, -0.5, v55, v0
	v_sub_f16_e32 v29, v35, v29
	v_fmac_f16_e32 v3, 0x38b4, v40
	v_add_f16_e32 v40, v23, v30
	v_fmac_f16_e32 v43, 0x34f2, v32
	v_fmac_f16_e32 v38, 0x34f2, v32
	v_add_f16_e32 v32, v46, v27
	v_fmamk_f16 v35, v29, 0x3b9c, v49
	v_sub_f16_e32 v24, v24, v36
	v_sub_f16_e32 v36, v23, v26
	;; [unrolled: 1-line block ×3, first 2 shown]
	v_fmac_f16_e32 v0, -0.5, v40
	v_fmac_f16_e32 v49, 0xbb9c, v29
	v_sub_f16_e32 v23, v26, v23
	v_sub_f16_e32 v26, v27, v30
	v_add_f16_e32 v27, v7, v12
	v_fmac_f16_e32 v33, 0x34f2, v34
	v_fmac_f16_e32 v3, 0x34f2, v34
	;; [unrolled: 1-line block ×3, first 2 shown]
	v_add_f16_e32 v34, v36, v46
	v_fmamk_f16 v36, v24, 0xbb9c, v0
	v_fmac_f16_e32 v49, 0xb8b4, v24
	v_fmac_f16_e32 v0, 0x3b9c, v24
	v_add_f16_e32 v24, v27, v13
	v_add_f16_e32 v23, v23, v26
	v_fmac_f16_e32 v36, 0x38b4, v29
	v_add_f16_e32 v26, v13, v41
	v_fmac_f16_e32 v0, 0xb8b4, v29
	v_add_f16_e32 v24, v24, v41
	v_add_f16_e32 v27, v12, v42
	v_fmac_f16_e32 v36, 0x34f2, v23
	v_fma_f16 v26, -0.5, v26, v7
	v_sub_f16_e32 v29, v11, v31
	v_fmac_f16_e32 v0, 0x34f2, v23
	v_add_f16_e32 v23, v24, v42
	v_sub_f16_e32 v24, v10, v9
	v_fmac_f16_e32 v7, -0.5, v27
	v_add_f16_e32 v32, v32, v30
	v_fmac_f16_e32 v35, 0x34f2, v34
	v_fmac_f16_e32 v49, 0x34f2, v34
	v_fmamk_f16 v27, v29, 0xbb9c, v26
	v_sub_f16_e32 v30, v12, v13
	v_sub_f16_e32 v34, v42, v41
	v_fmac_f16_e32 v26, 0x3b9c, v29
	v_fmamk_f16 v40, v24, 0x3b9c, v7
	v_fmac_f16_e32 v7, 0xbb9c, v24
	v_sub_f16_e32 v46, v13, v12
	v_sub_f16_e32 v51, v41, v42
	v_fmac_f16_e32 v27, 0xb8b4, v24
	v_add_f16_e32 v30, v30, v34
	v_fmac_f16_e32 v26, 0x38b4, v24
	v_fmac_f16_e32 v40, 0xb8b4, v29
	v_add_f16_e32 v24, v10, v9
	v_fmac_f16_e32 v7, 0x38b4, v29
	v_add_f16_e32 v29, v11, v31
	v_add_f16_e32 v34, v46, v51
	v_fmac_f16_e32 v27, 0x34f2, v30
	v_fmac_f16_e32 v26, 0x34f2, v30
	v_fma_f16 v24, -0.5, v24, v8
	v_sub_f16_e32 v12, v12, v42
	v_add_f16_e32 v30, v8, v11
	v_sub_f16_e32 v13, v13, v41
	v_fmac_f16_e32 v8, -0.5, v29
	v_fmac_f16_e32 v40, 0x34f2, v34
	v_fmac_f16_e32 v7, 0x34f2, v34
	v_fmamk_f16 v29, v12, 0x3b9c, v24
	v_sub_f16_e32 v34, v11, v10
	v_sub_f16_e32 v41, v31, v9
	v_fmamk_f16 v42, v13, 0xbb9c, v8
	v_sub_f16_e32 v11, v10, v11
	v_sub_f16_e32 v46, v9, v31
	v_fmac_f16_e32 v8, 0x3b9c, v13
	v_fmac_f16_e32 v24, 0xbb9c, v12
	v_add_f16_e32 v34, v34, v41
	v_fmac_f16_e32 v29, 0x38b4, v13
	v_add_f16_e32 v11, v11, v46
	v_fmac_f16_e32 v8, 0xb8b4, v12
	v_fmac_f16_e32 v24, 0xb8b4, v13
	;; [unrolled: 1-line block ×3, first 2 shown]
	v_add_f16_e32 v10, v30, v10
	v_fmac_f16_e32 v29, 0x34f2, v34
	v_fmac_f16_e32 v8, 0x34f2, v11
	v_fmac_f16_e32 v24, 0x34f2, v34
	v_fmac_f16_e32 v42, 0x34f2, v11
	v_add_f16_e32 v9, v10, v9
	v_mul_f16_e32 v10, 0xb8b4, v29
	v_mul_f16_e32 v12, 0xbb9c, v8
	;; [unrolled: 1-line block ×6, first 2 shown]
	v_fmac_f16_e32 v12, 0xb4f2, v7
	v_fmac_f16_e32 v13, 0xba79, v26
	v_mul_f16_e32 v8, 0xb4f2, v8
	v_mul_f16_e32 v24, 0xba79, v24
	v_fmac_f16_e32 v10, 0x3a79, v27
	v_add_f16_e32 v41, v3, v12
	v_add_f16_e32 v46, v38, v13
	v_sub_f16_e32 v3, v3, v12
	v_sub_f16_e32 v12, v38, v13
	v_cndmask_b32_e64 v13, 0, 0x7d0, s0
	v_fmac_f16_e32 v11, 0x34f2, v40
	v_add_f16_e32 v9, v9, v31
	v_fmac_f16_e32 v29, 0x38b4, v27
	v_fmac_f16_e32 v42, 0x3b9c, v40
	;; [unrolled: 1-line block ×4, first 2 shown]
	v_add3_u32 v4, 0, v13, v4
	v_add_f16_e32 v30, v25, v23
	v_add_f16_e32 v31, v43, v10
	;; [unrolled: 1-line block ×3, first 2 shown]
	v_sub_f16_e32 v23, v25, v23
	v_add_f16_e32 v7, v32, v9
	v_add_f16_e32 v51, v35, v29
	;; [unrolled: 1-line block ×5, first 2 shown]
	v_sub_f16_e32 v10, v43, v10
	v_sub_f16_e32 v11, v33, v11
	;; [unrolled: 1-line block ×7, first 2 shown]
	s_barrier
	buffer_gl0_inv
	ds_write_b16 v4, v47
	ds_write_b16 v4, v50 offset:200
	ds_write_b16 v4, v52 offset:400
	;; [unrolled: 1-line block ×9, first 2 shown]
	ds_write_b16 v1, v30
	ds_write_b16 v1, v31 offset:200
	ds_write_b16 v1, v34 offset:400
	;; [unrolled: 1-line block ×9, first 2 shown]
	s_waitcnt lgkmcnt(0)
	s_barrier
	buffer_gl0_inv
	ds_read_u16 v27, v22
	ds_read_u16 v23, v22 offset:400
	ds_read_u16 v24, v22 offset:800
	v_lshl_add_u32 v43, v21, 1, 0
	ds_read_u16 v31, v22 offset:2800
	ds_read_u16 v34, v22 offset:3200
	;; [unrolled: 1-line block ×17, first 2 shown]
	s_waitcnt lgkmcnt(0)
	s_barrier
	buffer_gl0_inv
	ds_write_b16 v4, v54
	ds_write_b16 v4, v57 offset:200
	ds_write_b16 v4, v60 offset:400
	;; [unrolled: 1-line block ×9, first 2 shown]
	ds_write_b16 v1, v7
	ds_write_b16 v1, v51 offset:200
	ds_write_b16 v1, v55 offset:400
	;; [unrolled: 1-line block ×9, first 2 shown]
	s_waitcnt lgkmcnt(0)
	s_barrier
	buffer_gl0_inv
	s_and_saveexec_b32 s0, vcc_lo
	s_cbranch_execz .LBB0_15
; %bb.14:
	v_mul_u32_u24_e32 v0, 3, v21
	v_add_nc_u32_e32 v4, 0x320, v21
	v_add_nc_u32_e32 v52, 0xc8, v21
	;; [unrolled: 1-line block ×3, first 2 shown]
	v_mul_hi_u32 v65, 0x10624dd3, v21
	v_lshlrev_b32_e32 v0, 2, v0
	v_mad_u32_u24 v19, v4, 3, 0xfffffda8
	v_mul_hi_u32 v69, 0x10624dd3, v52
	v_add_nc_u32_e32 v66, 0x258, v21
	v_lshlrev_b64 v[15:16], 2, v[15:16]
	v_add_co_u32 v0, s0, s12, v0
	v_add_co_ci_u32_e64 v1, null, s13, 0, s0
	v_lshlrev_b64 v[2:3], 2, v[19:20]
	v_add_co_u32 v0, vcc_lo, 0x800, v0
	v_add_co_ci_u32_e32 v1, vcc_lo, 0, v1, vcc_lo
	v_mad_u32_u24 v19, v4, 3, 0xfffffb50
	v_lshrrev_b32_e32 v65, 6, v65
	v_mov_b32_e32 v46, v20
	global_load_dwordx3 v[12:14], v[0:1], off offset:1912
	v_mul_u32_u24_e32 v0, 3, v4
	v_lshlrev_b32_e32 v0, 2, v0
	v_add_co_u32 v0, s0, s12, v0
	v_add_co_ci_u32_e64 v1, null, s13, 0, s0
	v_add_co_u32 v0, vcc_lo, 0x800, v0
	v_add_co_ci_u32_e32 v1, vcc_lo, 0, v1, vcc_lo
	global_load_dwordx3 v[9:11], v[0:1], off offset:1912
	v_add_co_u32 v0, vcc_lo, s12, v2
	v_add_co_ci_u32_e32 v1, vcc_lo, s13, v3, vcc_lo
	v_lshlrev_b64 v[2:3], 2, v[19:20]
	v_add_co_u32 v0, vcc_lo, 0x800, v0
	v_add_co_ci_u32_e32 v1, vcc_lo, 0, v1, vcc_lo
	v_mad_u32_u24 v19, v4, 3, 0xfffff8f8
	global_load_dwordx3 v[6:8], v[0:1], off offset:1912
	v_add_co_u32 v0, vcc_lo, s12, v2
	v_add_co_ci_u32_e32 v1, vcc_lo, s13, v3, vcc_lo
	v_lshlrev_b64 v[44:45], 2, v[19:20]
	v_add_co_u32 v0, vcc_lo, 0x800, v0
	v_add_co_ci_u32_e32 v1, vcc_lo, 0, v1, vcc_lo
	v_mul_lo_u32 v19, s3, v17
	global_load_dwordx3 v[3:5], v[0:1], off offset:1912
	v_add_co_u32 v0, vcc_lo, s12, v44
	v_add_co_ci_u32_e32 v1, vcc_lo, s13, v45, vcc_lo
	v_mul_lo_u32 v45, s2, v18
	v_add_co_u32 v0, vcc_lo, 0x800, v0
	v_add_co_ci_u32_e32 v1, vcc_lo, 0, v1, vcc_lo
	v_mad_u64_u32 v[17:18], null, s2, v17, 0
	global_load_dwordx3 v[0:2], v[0:1], off offset:1912
	ds_read_u16 v44, v22 offset:3600
	ds_read_u16 v47, v43 offset:1200
	;; [unrolled: 1-line block ×16, first 2 shown]
	ds_read_u16 v64, v22
	v_mov_b32_e32 v43, v20
	v_add3_u32 v18, v18, v45, v19
	v_mul_u32_u24_e32 v45, 0x3e8, v65
	ds_read_u16 v67, v22 offset:1600
	s_waitcnt vmcnt(4)
	v_mul_f16_sdwa v68, v40, v12 dst_sel:DWORD dst_unused:UNUSED_PAD src0_sel:DWORD src1_sel:WORD_1
	v_lshrrev_b32_e32 v71, 16, v13
	s_waitcnt lgkmcnt(12)
	v_mul_f16_sdwa v72, v51, v12 dst_sel:DWORD dst_unused:UNUSED_PAD src0_sel:DWORD src1_sel:WORD_1
	v_mul_f16_sdwa v70, v41, v14 dst_sel:DWORD dst_unused:UNUSED_PAD src0_sel:DWORD src1_sel:WORD_1
	v_fma_f16 v51, v51, v12, -v68
	s_waitcnt lgkmcnt(10)
	v_mul_f16_sdwa v68, v54, v14 dst_sel:DWORD dst_unused:UNUSED_PAD src0_sel:DWORD src1_sel:WORD_1
	v_fmac_f16_e32 v72, v40, v12
	v_mul_f16_e32 v12, v42, v71
	v_lshrrev_b32_e32 v40, 6, v69
	v_fma_f16 v54, v54, v14, -v70
	v_fmac_f16_e32 v68, v41, v14
	v_mul_hi_u32 v14, 0x10624dd3, v60
	v_mul_f16_e32 v41, v42, v13
	s_waitcnt lgkmcnt(5)
	v_fma_f16 v69, v59, v13, -v12
	v_mul_u32_u24_e32 v13, 0x3e8, v40
	v_mul_hi_u32 v42, 0x10624dd3, v66
	v_add_nc_u32_e32 v70, 0x320, v21
	v_fmac_f16_e32 v41, v59, v71
	s_waitcnt lgkmcnt(1)
	v_sub_f16_e32 v69, v64, v69
	v_sub_nc_u32_e32 v19, v52, v13
	v_lshrrev_b32_e32 v65, 6, v14
	v_lshlrev_b64 v[13:14], 2, v[17:18]
	v_sub_nc_u32_e32 v17, v21, v45
	v_lshrrev_b32_e32 v74, 6, v42
	v_mad_u32_u24 v19, 0xfa0, v40, v19
	v_mul_u32_u24_e32 v18, 0x3e8, v65
	s_waitcnt vmcnt(3)
	v_mul_f16_sdwa v59, v44, v9 dst_sel:DWORD dst_unused:UNUSED_PAD src0_sel:DWORD src1_sel:WORD_1
	v_add_co_u32 v40, vcc_lo, s10, v13
	v_mul_u32_u24_e32 v21, 0x3e8, v74
	v_add_co_ci_u32_e32 v75, vcc_lo, s11, v14, vcc_lo
	v_sub_nc_u32_e32 v18, v60, v18
	v_lshlrev_b64 v[13:14], 2, v[19:20]
	v_add_nc_u32_e32 v42, 0x3e8, v19
	v_add_nc_u32_e32 v45, 0x7d0, v19
	;; [unrolled: 1-line block ×3, first 2 shown]
	v_add_co_u32 v60, vcc_lo, v40, v15
	v_sub_nc_u32_e32 v21, v66, v21
	v_add_co_ci_u32_e32 v66, vcc_lo, v75, v16, vcc_lo
	v_lshlrev_b64 v[15:16], 2, v[19:20]
	v_mad_u32_u24 v19, 0xfa0, v65, v18
	v_mul_f16_sdwa v18, v39, v9 dst_sel:DWORD dst_unused:UNUSED_PAD src0_sel:DWORD src1_sel:WORD_1
	v_mul_f16_sdwa v40, v38, v11 dst_sel:DWORD dst_unused:UNUSED_PAD src0_sel:DWORD src1_sel:WORD_1
	v_lshrrev_b32_e32 v65, 16, v10
	v_mul_f16_sdwa v71, v48, v11 dst_sel:DWORD dst_unused:UNUSED_PAD src0_sel:DWORD src1_sel:WORD_1
	v_fmac_f16_e32 v59, v39, v9
	v_fma_f16 v44, v44, v9, -v18
	v_fma_f16 v48, v48, v11, -v40
	v_mul_f16_e32 v9, v37, v65
	v_fmac_f16_e32 v71, v38, v11
	s_waitcnt vmcnt(2)
	v_mul_f16_sdwa v11, v34, v6 dst_sel:DWORD dst_unused:UNUSED_PAD src0_sel:DWORD src1_sel:WORD_1
	v_mul_f16_sdwa v78, v61, v6 dst_sel:DWORD dst_unused:UNUSED_PAD src0_sel:DWORD src1_sel:WORD_1
	;; [unrolled: 1-line block ×3, first 2 shown]
	v_fma_f16 v77, v55, v10, -v9
	v_mul_f16_sdwa v9, v36, v8 dst_sel:DWORD dst_unused:UNUSED_PAD src0_sel:DWORD src1_sel:WORD_1
	v_fma_f16 v61, v61, v6, -v11
	v_fmac_f16_e32 v78, v34, v6
	s_waitcnt vmcnt(1)
	v_mul_f16_sdwa v6, v31, v3 dst_sel:DWORD dst_unused:UNUSED_PAD src0_sel:DWORD src1_sel:WORD_1
	v_lshrrev_b32_e32 v81, 16, v4
	v_fma_f16 v49, v49, v8, -v9
	v_sub_f16_e32 v40, v27, v41
	v_sub_f16_e32 v41, v72, v68
	v_fmac_f16_e32 v79, v36, v8
	v_mul_f16_sdwa v8, v33, v5 dst_sel:DWORD dst_unused:UNUSED_PAD src0_sel:DWORD src1_sel:WORD_1
	v_mul_f16_sdwa v68, v62, v3 dst_sel:DWORD dst_unused:UNUSED_PAD src0_sel:DWORD src1_sel:WORD_1
	;; [unrolled: 1-line block ×3, first 2 shown]
	v_fma_f16 v62, v62, v3, -v6
	v_mul_f16_e32 v6, v32, v81
	s_waitcnt vmcnt(0)
	v_lshrrev_b32_e32 v86, 16, v1
	v_lshlrev_b32_e32 v17, 2, v17
	v_lshrrev_b32_e32 v38, 16, v7
	v_add_co_u32 v13, vcc_lo, v60, v13
	v_sub_f16_e32 v39, v51, v54
	v_mul_f16_e32 v83, v32, v4
	v_fma_f16 v50, v50, v5, -v8
	v_fmac_f16_e32 v82, v33, v5
	v_mul_f16_sdwa v5, v29, v2 dst_sel:DWORD dst_unused:UNUSED_PAD src0_sel:DWORD src1_sel:WORD_1
	v_fma_f16 v85, v57, v4, -v6
	v_mul_f16_e32 v4, v30, v86
	v_add_co_ci_u32_e32 v14, vcc_lo, v66, v14, vcc_lo
	v_add_co_u32 v17, vcc_lo, v60, v17
	v_mul_f16_sdwa v88, v53, v2 dst_sel:DWORD dst_unused:UNUSED_PAD src0_sel:DWORD src1_sel:WORD_1
	v_mul_f16_e32 v9, v35, v38
	v_add_co_ci_u32_e32 v18, vcc_lo, 0, v66, vcc_lo
	v_add_f16_e32 v84, v40, v39
	v_fmac_f16_e32 v68, v31, v3
	v_mul_f16_sdwa v3, v28, v0 dst_sel:DWORD dst_unused:UNUSED_PAD src0_sel:DWORD src1_sel:WORD_1
	v_mul_f16_sdwa v87, v63, v0 dst_sel:DWORD dst_unused:UNUSED_PAD src0_sel:DWORD src1_sel:WORD_1
	v_sub_f16_e32 v89, v69, v41
	v_fma_f16 v53, v53, v2, -v5
	v_fma_f16 v91, v58, v1, -v4
	v_lshlrev_b64 v[4:5], 2, v[42:43]
	v_mul_hi_u32 v73, 0x10624dd3, v70
	v_fmac_f16_e32 v88, v29, v2
	v_add_co_u32 v2, vcc_lo, 0x2800, v17
	v_mul_f16_e32 v80, v35, v7
	v_fma_f16 v54, v56, v7, -v9
	v_lshlrev_b64 v[6:7], 2, v[45:46]
	ds_read_u16 v45, v22 offset:800
	v_fma_f16 v63, v63, v0, -v3
	v_fmac_f16_e32 v87, v28, v0
	v_add_co_ci_u32_e32 v3, vcc_lo, 0, v18, vcc_lo
	v_pack_b32_f16 v0, v84, v89
	v_add_co_u32 v4, vcc_lo, v60, v4
	v_add_co_ci_u32_e32 v5, vcc_lo, v66, v5, vcc_lo
	v_lshrrev_b32_e32 v73, 6, v73
	global_store_dword v[2:3], v0, off offset:1760
	v_lshlrev_b64 v[2:3], 2, v[19:20]
	v_add_nc_u32_e32 v11, 0x3e8, v19
	v_add_nc_u32_e32 v0, 0x7d0, v19
	;; [unrolled: 1-line block ×3, first 2 shown]
	v_add_co_u32 v6, vcc_lo, v60, v6
	v_add_co_ci_u32_e32 v7, vcc_lo, v66, v7, vcc_lo
	v_mov_b32_e32 v12, v20
	v_add_co_u32 v8, vcc_lo, v60, v15
	v_mul_u32_u24_e32 v76, 0x3e8, v73
	v_add_co_ci_u32_e32 v9, vcc_lo, v66, v16, vcc_lo
	v_lshlrev_b64 v[15:16], 2, v[19:20]
	v_mad_u32_u24 v19, 0xfa0, v74, v21
	v_mul_f16_e32 v90, v30, v1
	v_mov_b32_e32 v1, v20
	v_mul_f16_e32 v75, v37, v10
	v_lshlrev_b64 v[10:11], 2, v[11:12]
	v_sub_nc_u32_e32 v31, v70, v76
	v_lshlrev_b64 v[28:29], 2, v[19:20]
	v_add_nc_u32_e32 v30, 0x3e8, v19
	v_add_nc_u32_e32 v32, 0x7d0, v19
	;; [unrolled: 1-line block ×3, first 2 shown]
	v_lshlrev_b64 v[0:1], 2, v[0:1]
	v_add_co_u32 v2, vcc_lo, v60, v2
	v_add_co_ci_u32_e32 v3, vcc_lo, v66, v3, vcc_lo
	ds_read_u16 v52, v22 offset:400
	v_add_co_u32 v10, vcc_lo, v60, v10
	v_lshlrev_b64 v[34:35], 2, v[19:20]
	v_mad_u32_u24 v19, 0xfa0, v73, v31
	v_mov_b32_e32 v31, v20
	v_add_co_ci_u32_e32 v11, vcc_lo, v66, v11, vcc_lo
	v_add_co_u32 v0, vcc_lo, v60, v0
	v_mov_b32_e32 v33, v20
	v_add_co_ci_u32_e32 v1, vcc_lo, v66, v1, vcc_lo
	v_add_co_u32 v15, vcc_lo, v60, v15
	v_lshlrev_b64 v[30:31], 2, v[30:31]
	v_add_co_ci_u32_e32 v16, vcc_lo, v66, v16, vcc_lo
	v_add_co_u32 v28, vcc_lo, v60, v28
	v_lshlrev_b64 v[32:33], 2, v[32:33]
	v_fmac_f16_e32 v80, v56, v38
	v_fmac_f16_e32 v83, v57, v81
	v_add_co_ci_u32_e32 v29, vcc_lo, v66, v29, vcc_lo
	v_add_co_u32 v30, vcc_lo, v60, v30
	v_fmac_f16_e32 v75, v55, v65
	v_add_co_ci_u32_e32 v31, vcc_lo, v66, v31, vcc_lo
	v_add_co_u32 v32, vcc_lo, v60, v32
	v_lshlrev_b64 v[36:37], 2, v[19:20]
	v_fma_f16 v12, v72, 2.0, -v41
	v_fma_f16 v21, v51, 2.0, -v39
	;; [unrolled: 1-line block ×3, first 2 shown]
	v_fmac_f16_e32 v90, v58, v86
	v_fma_f16 v43, v64, 2.0, -v69
	v_fma_f16 v46, v69, 2.0, -v89
	v_sub_f16_e32 v49, v61, v49
	v_sub_f16_e32 v57, v26, v80
	;; [unrolled: 1-line block ×6, first 2 shown]
	v_add_co_ci_u32_e32 v33, vcc_lo, v66, v33, vcc_lo
	v_add_co_u32 v34, vcc_lo, v60, v34
	v_sub_f16_e32 v48, v44, v48
	v_sub_f16_e32 v55, v25, v75
	;; [unrolled: 1-line block ×3, first 2 shown]
	s_waitcnt lgkmcnt(2)
	v_sub_f16_e32 v64, v67, v77
	v_add_co_ci_u32_e32 v35, vcc_lo, v66, v35, vcc_lo
	v_sub_f16_e32 v12, v27, v12
	v_sub_f16_e32 v51, v43, v21
	v_fma_f16 v61, v61, 2.0, -v49
	v_add_f16_e32 v49, v57, v49
	v_fma_f16 v65, v78, 2.0, -v58
	v_sub_f16_e32 v70, v68, v82
	v_sub_f16_e32 v58, v54, v58
	v_fma_f16 v47, v47, 2.0, -v54
	v_fma_f16 v62, v62, 2.0, -v50
	v_add_f16_e32 v50, v69, v50
	s_waitcnt lgkmcnt(1)
	v_sub_f16_e32 v71, v45, v85
	v_add_co_u32 v36, vcc_lo, v60, v36
	v_fma_f16 v42, v40, 2.0, -v84
	v_add_co_ci_u32_e32 v37, vcc_lo, v66, v37, vcc_lo
	v_fma_f16 v44, v44, 2.0, -v48
	v_fma_f16 v25, v25, 2.0, -v55
	;; [unrolled: 1-line block ×4, first 2 shown]
	v_add_co_u32 v40, vcc_lo, 0x800, v17
	v_fma_f16 v27, v27, 2.0, -v12
	v_pack_b32_f16 v12, v12, v51
	v_fma_f16 v51, v43, 2.0, -v51
	v_fma_f16 v26, v26, 2.0, -v57
	;; [unrolled: 1-line block ×5, first 2 shown]
	v_sub_f16_e32 v72, v23, v90
	v_sub_f16_e32 v53, v63, v53
	v_sub_f16_e32 v73, v87, v88
	v_fma_f16 v54, v54, 2.0, -v58
	v_pack_b32_f16 v49, v49, v58
	v_sub_f16_e32 v58, v47, v61
	v_fma_f16 v61, v69, 2.0, -v50
	v_sub_f16_e32 v69, v71, v70
	s_waitcnt lgkmcnt(0)
	v_sub_f16_e32 v70, v52, v91
	v_add_co_ci_u32_e32 v41, vcc_lo, 0, v18, vcc_lo
	v_pack_b32_f16 v46, v42, v46
	v_add_co_u32 v42, vcc_lo, 0x1800, v17
	v_sub_f16_e32 v59, v25, v59
	v_sub_f16_e32 v44, v67, v44
	v_add_co_ci_u32_e32 v43, vcc_lo, 0, v18, vcc_lo
	v_fma_f16 v45, v45, 2.0, -v71
	v_fma_f16 v63, v63, 2.0, -v53
	;; [unrolled: 1-line block ×4, first 2 shown]
	v_pack_b32_f16 v27, v27, v51
	v_fma_f16 v51, v52, 2.0, -v70
	v_fma_f16 v25, v25, 2.0, -v59
	v_add_f16_e32 v53, v72, v53
	global_store_dword v[40:41], v46, off offset:1952
	global_store_dword v[42:43], v12, off offset:1856
	v_fma_f16 v12, v67, 2.0, -v44
	v_sub_f16_e32 v46, v70, v73
	v_fma_f16 v40, v47, 2.0, -v58
	v_sub_f16_e32 v42, v45, v62
	v_sub_f16_e32 v47, v23, v74
	global_store_dword v[17:18], v27, off
	v_sub_f16_e32 v18, v51, v63
	v_mov_b32_e32 v22, v20
	v_add_nc_u32_e32 v21, 0x3e8, v19
	v_sub_f16_e32 v68, v24, v68
	v_sub_f16_e32 v65, v26, v65
	v_fma_f16 v43, v72, 2.0, -v53
	v_pack_b32_f16 v12, v25, v12
	v_fma_f16 v25, v70, 2.0, -v46
	v_mov_b32_e32 v39, v20
	v_add_nc_u32_e32 v38, 0x7d0, v19
	v_fma_f16 v17, v45, 2.0, -v42
	v_fma_f16 v23, v23, 2.0, -v47
	;; [unrolled: 1-line block ×3, first 2 shown]
	v_lshlrev_b64 v[21:22], 2, v[21:22]
	v_fma_f16 v24, v24, 2.0, -v68
	v_fma_f16 v26, v26, 2.0, -v65
	;; [unrolled: 1-line block ×3, first 2 shown]
	v_pack_b32_f16 v27, v53, v46
	v_add_nc_u32_e32 v19, 0xbb8, v19
	v_add_f16_e32 v48, v55, v48
	v_sub_f16_e32 v56, v64, v56
	v_pack_b32_f16 v25, v43, v25
	v_lshlrev_b64 v[38:39], 2, v[38:39]
	v_pack_b32_f16 v18, v47, v18
	v_pack_b32_f16 v23, v23, v45
	;; [unrolled: 1-line block ×9, first 2 shown]
	global_store_dword v[8:9], v27, off
	global_store_dword v[4:5], v25, off
	;; [unrolled: 1-line block ×11, first 2 shown]
	v_add_co_u32 v0, vcc_lo, v60, v21
	v_lshlrev_b64 v[2:3], 2, v[19:20]
	v_fma_f16 v55, v55, 2.0, -v48
	v_fma_f16 v64, v64, 2.0, -v56
	v_add_co_ci_u32_e32 v1, vcc_lo, v66, v22, vcc_lo
	v_add_co_u32 v4, vcc_lo, v60, v38
	v_add_co_ci_u32_e32 v5, vcc_lo, v66, v39, vcc_lo
	v_pack_b32_f16 v6, v55, v64
	v_add_co_u32 v2, vcc_lo, v60, v2
	v_pack_b32_f16 v7, v59, v44
	v_add_co_ci_u32_e32 v3, vcc_lo, v66, v3, vcc_lo
	v_pack_b32_f16 v8, v48, v56
	global_store_dword v[34:35], v49, off
	global_store_dword v[36:37], v12, off
	;; [unrolled: 1-line block ×5, first 2 shown]
.LBB0_15:
	s_endpgm
	.section	.rodata,"a",@progbits
	.p2align	6, 0x0
	.amdhsa_kernel fft_rtc_back_len4000_factors_10_10_10_4_wgs_200_tpt_200_halfLds_half_op_CI_CI_unitstride_sbrr_dirReg
		.amdhsa_group_segment_fixed_size 0
		.amdhsa_private_segment_fixed_size 0
		.amdhsa_kernarg_size 104
		.amdhsa_user_sgpr_count 6
		.amdhsa_user_sgpr_private_segment_buffer 1
		.amdhsa_user_sgpr_dispatch_ptr 0
		.amdhsa_user_sgpr_queue_ptr 0
		.amdhsa_user_sgpr_kernarg_segment_ptr 1
		.amdhsa_user_sgpr_dispatch_id 0
		.amdhsa_user_sgpr_flat_scratch_init 0
		.amdhsa_user_sgpr_private_segment_size 0
		.amdhsa_wavefront_size32 1
		.amdhsa_uses_dynamic_stack 0
		.amdhsa_system_sgpr_private_segment_wavefront_offset 0
		.amdhsa_system_sgpr_workgroup_id_x 1
		.amdhsa_system_sgpr_workgroup_id_y 0
		.amdhsa_system_sgpr_workgroup_id_z 0
		.amdhsa_system_sgpr_workgroup_info 0
		.amdhsa_system_vgpr_workitem_id 0
		.amdhsa_next_free_vgpr 92
		.amdhsa_next_free_sgpr 27
		.amdhsa_reserve_vcc 1
		.amdhsa_reserve_flat_scratch 0
		.amdhsa_float_round_mode_32 0
		.amdhsa_float_round_mode_16_64 0
		.amdhsa_float_denorm_mode_32 3
		.amdhsa_float_denorm_mode_16_64 3
		.amdhsa_dx10_clamp 1
		.amdhsa_ieee_mode 1
		.amdhsa_fp16_overflow 0
		.amdhsa_workgroup_processor_mode 1
		.amdhsa_memory_ordered 1
		.amdhsa_forward_progress 0
		.amdhsa_shared_vgpr_count 0
		.amdhsa_exception_fp_ieee_invalid_op 0
		.amdhsa_exception_fp_denorm_src 0
		.amdhsa_exception_fp_ieee_div_zero 0
		.amdhsa_exception_fp_ieee_overflow 0
		.amdhsa_exception_fp_ieee_underflow 0
		.amdhsa_exception_fp_ieee_inexact 0
		.amdhsa_exception_int_div_zero 0
	.end_amdhsa_kernel
	.text
.Lfunc_end0:
	.size	fft_rtc_back_len4000_factors_10_10_10_4_wgs_200_tpt_200_halfLds_half_op_CI_CI_unitstride_sbrr_dirReg, .Lfunc_end0-fft_rtc_back_len4000_factors_10_10_10_4_wgs_200_tpt_200_halfLds_half_op_CI_CI_unitstride_sbrr_dirReg
                                        ; -- End function
	.section	.AMDGPU.csdata,"",@progbits
; Kernel info:
; codeLenInByte = 12960
; NumSgprs: 29
; NumVgprs: 92
; ScratchSize: 0
; MemoryBound: 0
; FloatMode: 240
; IeeeMode: 1
; LDSByteSize: 0 bytes/workgroup (compile time only)
; SGPRBlocks: 3
; VGPRBlocks: 11
; NumSGPRsForWavesPerEU: 29
; NumVGPRsForWavesPerEU: 92
; Occupancy: 10
; WaveLimiterHint : 1
; COMPUTE_PGM_RSRC2:SCRATCH_EN: 0
; COMPUTE_PGM_RSRC2:USER_SGPR: 6
; COMPUTE_PGM_RSRC2:TRAP_HANDLER: 0
; COMPUTE_PGM_RSRC2:TGID_X_EN: 1
; COMPUTE_PGM_RSRC2:TGID_Y_EN: 0
; COMPUTE_PGM_RSRC2:TGID_Z_EN: 0
; COMPUTE_PGM_RSRC2:TIDIG_COMP_CNT: 0
	.text
	.p2alignl 6, 3214868480
	.fill 48, 4, 3214868480
	.type	__hip_cuid_2f463c73399f7ffe,@object ; @__hip_cuid_2f463c73399f7ffe
	.section	.bss,"aw",@nobits
	.globl	__hip_cuid_2f463c73399f7ffe
__hip_cuid_2f463c73399f7ffe:
	.byte	0                               ; 0x0
	.size	__hip_cuid_2f463c73399f7ffe, 1

	.ident	"AMD clang version 19.0.0git (https://github.com/RadeonOpenCompute/llvm-project roc-6.4.0 25133 c7fe45cf4b819c5991fe208aaa96edf142730f1d)"
	.section	".note.GNU-stack","",@progbits
	.addrsig
	.addrsig_sym __hip_cuid_2f463c73399f7ffe
	.amdgpu_metadata
---
amdhsa.kernels:
  - .args:
      - .actual_access:  read_only
        .address_space:  global
        .offset:         0
        .size:           8
        .value_kind:     global_buffer
      - .offset:         8
        .size:           8
        .value_kind:     by_value
      - .actual_access:  read_only
        .address_space:  global
        .offset:         16
        .size:           8
        .value_kind:     global_buffer
      - .actual_access:  read_only
        .address_space:  global
        .offset:         24
        .size:           8
        .value_kind:     global_buffer
      - .actual_access:  read_only
        .address_space:  global
        .offset:         32
        .size:           8
        .value_kind:     global_buffer
      - .offset:         40
        .size:           8
        .value_kind:     by_value
      - .actual_access:  read_only
        .address_space:  global
        .offset:         48
        .size:           8
        .value_kind:     global_buffer
      - .actual_access:  read_only
        .address_space:  global
        .offset:         56
        .size:           8
        .value_kind:     global_buffer
      - .offset:         64
        .size:           4
        .value_kind:     by_value
      - .actual_access:  read_only
        .address_space:  global
        .offset:         72
        .size:           8
        .value_kind:     global_buffer
      - .actual_access:  read_only
        .address_space:  global
        .offset:         80
        .size:           8
        .value_kind:     global_buffer
      - .actual_access:  read_only
        .address_space:  global
        .offset:         88
        .size:           8
        .value_kind:     global_buffer
      - .actual_access:  write_only
        .address_space:  global
        .offset:         96
        .size:           8
        .value_kind:     global_buffer
    .group_segment_fixed_size: 0
    .kernarg_segment_align: 8
    .kernarg_segment_size: 104
    .language:       OpenCL C
    .language_version:
      - 2
      - 0
    .max_flat_workgroup_size: 200
    .name:           fft_rtc_back_len4000_factors_10_10_10_4_wgs_200_tpt_200_halfLds_half_op_CI_CI_unitstride_sbrr_dirReg
    .private_segment_fixed_size: 0
    .sgpr_count:     29
    .sgpr_spill_count: 0
    .symbol:         fft_rtc_back_len4000_factors_10_10_10_4_wgs_200_tpt_200_halfLds_half_op_CI_CI_unitstride_sbrr_dirReg.kd
    .uniform_work_group_size: 1
    .uses_dynamic_stack: false
    .vgpr_count:     92
    .vgpr_spill_count: 0
    .wavefront_size: 32
    .workgroup_processor_mode: 1
amdhsa.target:   amdgcn-amd-amdhsa--gfx1030
amdhsa.version:
  - 1
  - 2
...

	.end_amdgpu_metadata
